;; amdgpu-corpus repo=ROCm/rocFFT kind=compiled arch=gfx1201 opt=O3
	.text
	.amdgcn_target "amdgcn-amd-amdhsa--gfx1201"
	.amdhsa_code_object_version 6
	.protected	fft_rtc_fwd_len1190_factors_17_2_5_7_wgs_255_tpt_85_halfLds_dp_ip_CI_unitstride_sbrr_dirReg ; -- Begin function fft_rtc_fwd_len1190_factors_17_2_5_7_wgs_255_tpt_85_halfLds_dp_ip_CI_unitstride_sbrr_dirReg
	.globl	fft_rtc_fwd_len1190_factors_17_2_5_7_wgs_255_tpt_85_halfLds_dp_ip_CI_unitstride_sbrr_dirReg
	.p2align	8
	.type	fft_rtc_fwd_len1190_factors_17_2_5_7_wgs_255_tpt_85_halfLds_dp_ip_CI_unitstride_sbrr_dirReg,@function
fft_rtc_fwd_len1190_factors_17_2_5_7_wgs_255_tpt_85_halfLds_dp_ip_CI_unitstride_sbrr_dirReg: ; @fft_rtc_fwd_len1190_factors_17_2_5_7_wgs_255_tpt_85_halfLds_dp_ip_CI_unitstride_sbrr_dirReg
; %bb.0:
	s_load_b128 s[4:7], s[0:1], 0x0
	v_mul_u32_u24_e32 v1, 0x304, v0
	s_clause 0x1
	s_load_b64 s[8:9], s[0:1], 0x50
	s_load_b64 s[10:11], s[0:1], 0x18
	v_mov_b32_e32 v3, 0
	v_lshrrev_b32_e32 v1, 16, v1
	s_delay_alu instid0(VALU_DEP_1) | instskip(SKIP_1) | instid1(VALU_DEP_4)
	v_mad_co_u64_u32 v[122:123], null, ttmp9, 3, v[1:2]
	v_mov_b32_e32 v1, 0
	v_dual_mov_b32 v2, 0 :: v_dual_mov_b32 v123, v3
	s_delay_alu instid0(VALU_DEP_1) | instskip(SKIP_2) | instid1(VALU_DEP_1)
	v_dual_mov_b32 v7, v122 :: v_dual_mov_b32 v8, v123
	s_wait_kmcnt 0x0
	v_cmp_lt_u64_e64 s2, s[6:7], 2
	s_and_b32 vcc_lo, exec_lo, s2
	s_cbranch_vccnz .LBB0_8
; %bb.1:
	s_load_b64 s[2:3], s[0:1], 0x10
	v_mov_b32_e32 v1, 0
	v_dual_mov_b32 v2, 0 :: v_dual_mov_b32 v5, v122
	v_mov_b32_e32 v6, v123
	s_add_nc_u64 s[12:13], s[10:11], 8
	s_mov_b64 s[14:15], 1
	s_wait_kmcnt 0x0
	s_add_nc_u64 s[16:17], s[2:3], 8
	s_mov_b32 s3, 0
.LBB0_2:                                ; =>This Inner Loop Header: Depth=1
	s_load_b64 s[18:19], s[16:17], 0x0
                                        ; implicit-def: $vgpr7_vgpr8
	s_mov_b32 s2, exec_lo
	s_wait_kmcnt 0x0
	v_or_b32_e32 v4, s19, v6
	s_delay_alu instid0(VALU_DEP_1)
	v_cmpx_ne_u64_e32 0, v[3:4]
	s_wait_alu 0xfffe
	s_xor_b32 s20, exec_lo, s2
	s_cbranch_execz .LBB0_4
; %bb.3:                                ;   in Loop: Header=BB0_2 Depth=1
	s_cvt_f32_u32 s2, s18
	s_cvt_f32_u32 s21, s19
	s_sub_nc_u64 s[24:25], 0, s[18:19]
	s_wait_alu 0xfffe
	s_delay_alu instid0(SALU_CYCLE_1) | instskip(SKIP_1) | instid1(SALU_CYCLE_2)
	s_fmamk_f32 s2, s21, 0x4f800000, s2
	s_wait_alu 0xfffe
	v_s_rcp_f32 s2, s2
	s_delay_alu instid0(TRANS32_DEP_1) | instskip(SKIP_1) | instid1(SALU_CYCLE_2)
	s_mul_f32 s2, s2, 0x5f7ffffc
	s_wait_alu 0xfffe
	s_mul_f32 s21, s2, 0x2f800000
	s_wait_alu 0xfffe
	s_delay_alu instid0(SALU_CYCLE_2) | instskip(SKIP_1) | instid1(SALU_CYCLE_2)
	s_trunc_f32 s21, s21
	s_wait_alu 0xfffe
	s_fmamk_f32 s2, s21, 0xcf800000, s2
	s_cvt_u32_f32 s23, s21
	s_wait_alu 0xfffe
	s_delay_alu instid0(SALU_CYCLE_1) | instskip(SKIP_1) | instid1(SALU_CYCLE_2)
	s_cvt_u32_f32 s22, s2
	s_wait_alu 0xfffe
	s_mul_u64 s[26:27], s[24:25], s[22:23]
	s_wait_alu 0xfffe
	s_mul_hi_u32 s29, s22, s27
	s_mul_i32 s28, s22, s27
	s_mul_hi_u32 s2, s22, s26
	s_mul_i32 s30, s23, s26
	s_wait_alu 0xfffe
	s_add_nc_u64 s[28:29], s[2:3], s[28:29]
	s_mul_hi_u32 s21, s23, s26
	s_mul_hi_u32 s31, s23, s27
	s_add_co_u32 s2, s28, s30
	s_wait_alu 0xfffe
	s_add_co_ci_u32 s2, s29, s21
	s_mul_i32 s26, s23, s27
	s_add_co_ci_u32 s27, s31, 0
	s_wait_alu 0xfffe
	s_add_nc_u64 s[26:27], s[2:3], s[26:27]
	s_wait_alu 0xfffe
	v_add_co_u32 v4, s2, s22, s26
	s_delay_alu instid0(VALU_DEP_1) | instskip(SKIP_1) | instid1(VALU_DEP_1)
	s_cmp_lg_u32 s2, 0
	s_add_co_ci_u32 s23, s23, s27
	v_readfirstlane_b32 s22, v4
	s_wait_alu 0xfffe
	s_delay_alu instid0(VALU_DEP_1)
	s_mul_u64 s[24:25], s[24:25], s[22:23]
	s_wait_alu 0xfffe
	s_mul_hi_u32 s27, s22, s25
	s_mul_i32 s26, s22, s25
	s_mul_hi_u32 s2, s22, s24
	s_mul_i32 s28, s23, s24
	s_wait_alu 0xfffe
	s_add_nc_u64 s[26:27], s[2:3], s[26:27]
	s_mul_hi_u32 s21, s23, s24
	s_mul_hi_u32 s22, s23, s25
	s_wait_alu 0xfffe
	s_add_co_u32 s2, s26, s28
	s_add_co_ci_u32 s2, s27, s21
	s_mul_i32 s24, s23, s25
	s_add_co_ci_u32 s25, s22, 0
	s_wait_alu 0xfffe
	s_add_nc_u64 s[24:25], s[2:3], s[24:25]
	s_wait_alu 0xfffe
	v_add_co_u32 v4, s2, v4, s24
	s_delay_alu instid0(VALU_DEP_1) | instskip(SKIP_1) | instid1(VALU_DEP_1)
	s_cmp_lg_u32 s2, 0
	s_add_co_ci_u32 s2, s23, s25
	v_mul_hi_u32 v13, v5, v4
	s_wait_alu 0xfffe
	v_mad_co_u64_u32 v[7:8], null, v5, s2, 0
	v_mad_co_u64_u32 v[9:10], null, v6, v4, 0
	;; [unrolled: 1-line block ×3, first 2 shown]
	s_delay_alu instid0(VALU_DEP_3) | instskip(SKIP_1) | instid1(VALU_DEP_4)
	v_add_co_u32 v4, vcc_lo, v13, v7
	s_wait_alu 0xfffd
	v_add_co_ci_u32_e32 v7, vcc_lo, 0, v8, vcc_lo
	s_delay_alu instid0(VALU_DEP_2) | instskip(SKIP_1) | instid1(VALU_DEP_2)
	v_add_co_u32 v4, vcc_lo, v4, v9
	s_wait_alu 0xfffd
	v_add_co_ci_u32_e32 v4, vcc_lo, v7, v10, vcc_lo
	s_wait_alu 0xfffd
	v_add_co_ci_u32_e32 v7, vcc_lo, 0, v12, vcc_lo
	s_delay_alu instid0(VALU_DEP_2) | instskip(SKIP_1) | instid1(VALU_DEP_2)
	v_add_co_u32 v4, vcc_lo, v4, v11
	s_wait_alu 0xfffd
	v_add_co_ci_u32_e32 v9, vcc_lo, 0, v7, vcc_lo
	s_delay_alu instid0(VALU_DEP_2) | instskip(SKIP_1) | instid1(VALU_DEP_3)
	v_mul_lo_u32 v10, s19, v4
	v_mad_co_u64_u32 v[7:8], null, s18, v4, 0
	v_mul_lo_u32 v11, s18, v9
	s_delay_alu instid0(VALU_DEP_2) | instskip(NEXT) | instid1(VALU_DEP_2)
	v_sub_co_u32 v7, vcc_lo, v5, v7
	v_add3_u32 v8, v8, v11, v10
	s_delay_alu instid0(VALU_DEP_1) | instskip(SKIP_1) | instid1(VALU_DEP_1)
	v_sub_nc_u32_e32 v10, v6, v8
	s_wait_alu 0xfffd
	v_subrev_co_ci_u32_e64 v10, s2, s19, v10, vcc_lo
	v_add_co_u32 v11, s2, v4, 2
	s_wait_alu 0xf1ff
	v_add_co_ci_u32_e64 v12, s2, 0, v9, s2
	v_sub_co_u32 v13, s2, v7, s18
	v_sub_co_ci_u32_e32 v8, vcc_lo, v6, v8, vcc_lo
	s_wait_alu 0xf1ff
	v_subrev_co_ci_u32_e64 v10, s2, 0, v10, s2
	s_delay_alu instid0(VALU_DEP_3) | instskip(NEXT) | instid1(VALU_DEP_3)
	v_cmp_le_u32_e32 vcc_lo, s18, v13
	v_cmp_eq_u32_e64 s2, s19, v8
	s_wait_alu 0xfffd
	v_cndmask_b32_e64 v13, 0, -1, vcc_lo
	v_cmp_le_u32_e32 vcc_lo, s19, v10
	s_wait_alu 0xfffd
	v_cndmask_b32_e64 v14, 0, -1, vcc_lo
	v_cmp_le_u32_e32 vcc_lo, s18, v7
	;; [unrolled: 3-line block ×3, first 2 shown]
	s_wait_alu 0xfffd
	v_cndmask_b32_e64 v15, 0, -1, vcc_lo
	v_cmp_eq_u32_e32 vcc_lo, s19, v10
	s_wait_alu 0xf1ff
	s_delay_alu instid0(VALU_DEP_2)
	v_cndmask_b32_e64 v7, v15, v7, s2
	s_wait_alu 0xfffd
	v_cndmask_b32_e32 v10, v14, v13, vcc_lo
	v_add_co_u32 v13, vcc_lo, v4, 1
	s_wait_alu 0xfffd
	v_add_co_ci_u32_e32 v14, vcc_lo, 0, v9, vcc_lo
	s_delay_alu instid0(VALU_DEP_3) | instskip(SKIP_2) | instid1(VALU_DEP_3)
	v_cmp_ne_u32_e32 vcc_lo, 0, v10
	s_wait_alu 0xfffd
	v_cndmask_b32_e32 v10, v13, v11, vcc_lo
	v_cndmask_b32_e32 v8, v14, v12, vcc_lo
	v_cmp_ne_u32_e32 vcc_lo, 0, v7
	s_wait_alu 0xfffd
	s_delay_alu instid0(VALU_DEP_2)
	v_dual_cndmask_b32 v7, v4, v10 :: v_dual_cndmask_b32 v8, v9, v8
.LBB0_4:                                ;   in Loop: Header=BB0_2 Depth=1
	s_wait_alu 0xfffe
	s_and_not1_saveexec_b32 s2, s20
	s_cbranch_execz .LBB0_6
; %bb.5:                                ;   in Loop: Header=BB0_2 Depth=1
	v_cvt_f32_u32_e32 v4, s18
	s_sub_co_i32 s20, 0, s18
	s_delay_alu instid0(VALU_DEP_1) | instskip(NEXT) | instid1(TRANS32_DEP_1)
	v_rcp_iflag_f32_e32 v4, v4
	v_mul_f32_e32 v4, 0x4f7ffffe, v4
	s_delay_alu instid0(VALU_DEP_1) | instskip(SKIP_1) | instid1(VALU_DEP_1)
	v_cvt_u32_f32_e32 v4, v4
	s_wait_alu 0xfffe
	v_mul_lo_u32 v7, s20, v4
	s_delay_alu instid0(VALU_DEP_1) | instskip(NEXT) | instid1(VALU_DEP_1)
	v_mul_hi_u32 v7, v4, v7
	v_add_nc_u32_e32 v4, v4, v7
	s_delay_alu instid0(VALU_DEP_1) | instskip(NEXT) | instid1(VALU_DEP_1)
	v_mul_hi_u32 v4, v5, v4
	v_mul_lo_u32 v7, v4, s18
	v_add_nc_u32_e32 v8, 1, v4
	s_delay_alu instid0(VALU_DEP_2) | instskip(NEXT) | instid1(VALU_DEP_1)
	v_sub_nc_u32_e32 v7, v5, v7
	v_subrev_nc_u32_e32 v9, s18, v7
	v_cmp_le_u32_e32 vcc_lo, s18, v7
	s_wait_alu 0xfffd
	s_delay_alu instid0(VALU_DEP_2) | instskip(NEXT) | instid1(VALU_DEP_1)
	v_dual_cndmask_b32 v7, v7, v9 :: v_dual_cndmask_b32 v4, v4, v8
	v_cmp_le_u32_e32 vcc_lo, s18, v7
	s_delay_alu instid0(VALU_DEP_2) | instskip(SKIP_1) | instid1(VALU_DEP_1)
	v_add_nc_u32_e32 v8, 1, v4
	s_wait_alu 0xfffd
	v_dual_cndmask_b32 v7, v4, v8 :: v_dual_mov_b32 v8, v3
.LBB0_6:                                ;   in Loop: Header=BB0_2 Depth=1
	s_wait_alu 0xfffe
	s_or_b32 exec_lo, exec_lo, s2
	s_load_b64 s[20:21], s[12:13], 0x0
	s_delay_alu instid0(VALU_DEP_1)
	v_mul_lo_u32 v4, v8, s18
	v_mul_lo_u32 v11, v7, s19
	v_mad_co_u64_u32 v[9:10], null, v7, s18, 0
	s_add_nc_u64 s[14:15], s[14:15], 1
	s_add_nc_u64 s[12:13], s[12:13], 8
	s_wait_alu 0xfffe
	v_cmp_ge_u64_e64 s2, s[14:15], s[6:7]
	s_add_nc_u64 s[16:17], s[16:17], 8
	s_delay_alu instid0(VALU_DEP_2) | instskip(NEXT) | instid1(VALU_DEP_3)
	v_add3_u32 v4, v10, v11, v4
	v_sub_co_u32 v5, vcc_lo, v5, v9
	s_wait_alu 0xfffd
	s_delay_alu instid0(VALU_DEP_2) | instskip(SKIP_3) | instid1(VALU_DEP_2)
	v_sub_co_ci_u32_e32 v4, vcc_lo, v6, v4, vcc_lo
	s_and_b32 vcc_lo, exec_lo, s2
	s_wait_kmcnt 0x0
	v_mul_lo_u32 v6, s21, v5
	v_mul_lo_u32 v4, s20, v4
	v_mad_co_u64_u32 v[1:2], null, s20, v5, v[1:2]
	s_delay_alu instid0(VALU_DEP_1)
	v_add3_u32 v2, v6, v2, v4
	s_wait_alu 0xfffe
	s_cbranch_vccnz .LBB0_8
; %bb.7:                                ;   in Loop: Header=BB0_2 Depth=1
	v_dual_mov_b32 v5, v7 :: v_dual_mov_b32 v6, v8
	s_branch .LBB0_2
.LBB0_8:
	s_lshl_b64 s[2:3], s[6:7], 3
	v_mul_hi_u32 v3, 0x3030304, v0
	s_wait_alu 0xfffe
	s_add_nc_u64 s[2:3], s[10:11], s[2:3]
                                        ; implicit-def: $vgpr10_vgpr11
                                        ; implicit-def: $vgpr14_vgpr15
                                        ; implicit-def: $vgpr18_vgpr19
                                        ; implicit-def: $vgpr22_vgpr23
                                        ; implicit-def: $vgpr30_vgpr31
                                        ; implicit-def: $vgpr34_vgpr35
                                        ; implicit-def: $vgpr38_vgpr39
                                        ; implicit-def: $vgpr42_vgpr43
                                        ; implicit-def: $vgpr66_vgpr67
                                        ; implicit-def: $vgpr62_vgpr63
                                        ; implicit-def: $vgpr58_vgpr59
                                        ; implicit-def: $vgpr54_vgpr55
                                        ; implicit-def: $vgpr50_vgpr51
                                        ; implicit-def: $vgpr46_vgpr47
                                        ; implicit-def: $vgpr26_vgpr27
	s_load_b64 s[2:3], s[2:3], 0x0
	s_load_b64 s[0:1], s[0:1], 0x20
	s_delay_alu instid0(VALU_DEP_1) | instskip(NEXT) | instid1(VALU_DEP_1)
	v_mul_u32_u24_e32 v3, 0x55, v3
	v_sub_nc_u32_e32 v92, v0, v3
	s_wait_kmcnt 0x0
	v_mul_lo_u32 v4, s2, v8
	v_mul_lo_u32 v5, s3, v7
	v_mad_co_u64_u32 v[1:2], null, s2, v7, v[1:2]
	v_cmp_gt_u64_e32 vcc_lo, s[0:1], v[7:8]
	v_cmp_gt_u32_e64 s0, 0x46, v92
                                        ; implicit-def: $vgpr6_vgpr7
	s_delay_alu instid0(VALU_DEP_1) | instskip(NEXT) | instid1(VALU_DEP_3)
	s_and_b32 s1, vcc_lo, s0
	v_add3_u32 v2, v5, v2, v4
	s_delay_alu instid0(VALU_DEP_1)
	v_lshlrev_b64_e32 v[94:95], 4, v[1:2]
                                        ; implicit-def: $vgpr2_vgpr3
	s_wait_alu 0xfffe
	s_and_saveexec_b32 s2, s1
; %bb.9:
	v_mov_b32_e32 v93, 0
	s_delay_alu instid0(VALU_DEP_2) | instskip(SKIP_2) | instid1(VALU_DEP_3)
	v_add_co_u32 v2, s1, s8, v94
	s_wait_alu 0xf1ff
	v_add_co_ci_u32_e64 v3, s1, s9, v95, s1
	v_lshlrev_b64_e32 v[0:1], 4, v[92:93]
	s_delay_alu instid0(VALU_DEP_1) | instskip(SKIP_1) | instid1(VALU_DEP_2)
	v_add_co_u32 v0, s1, v2, v0
	s_wait_alu 0xf1ff
	v_add_co_ci_u32_e64 v1, s1, v3, v1, s1
	s_clause 0x10
	global_load_b128 v[24:27], v[0:1], off
	global_load_b128 v[44:47], v[0:1], off offset:1120
	global_load_b128 v[48:51], v[0:1], off offset:2240
	;; [unrolled: 1-line block ×16, first 2 shown]
; %bb.10:
	s_wait_alu 0xfffe
	s_or_b32 exec_lo, exec_lo, s2
	s_wait_loadcnt 0x0
	v_add_f64_e32 v[102:103], v[0:1], v[44:45]
	s_mov_b32 s2, 0x2b2883cd
	s_mov_b32 s3, 0x3fdc86fa
	v_add_f64_e64 v[120:121], v[46:47], -v[2:3]
	v_add_f64_e32 v[100:101], v[4:5], v[48:49]
	s_mov_b32 s20, 0x7c9e640b
	s_mov_b32 s6, 0x6ed5f1bb
	s_mov_b32 s21, 0xbfeca52d
	s_mov_b32 s7, 0xbfe348c8
	v_add_f64_e64 v[116:117], v[50:51], -v[6:7]
	v_add_f64_e32 v[98:99], v[8:9], v[52:53]
	s_mov_b32 s22, 0x6c9a05f6
	s_mov_b32 s10, 0x7faef3
	;; [unrolled: 6-line block ×5, first 2 shown]
	s_mov_b32 s31, 0x3fe58eea
	s_mov_b32 s17, 0x3fedd6d0
	v_add_f64_e64 v[90:91], v[66:67], -v[22:23]
	s_mov_b32 s34, 0x5d8e7cdc
	s_mov_b32 s18, 0x3259b75e
	;; [unrolled: 1-line block ×4, first 2 shown]
	s_wait_alu 0xfffe
	v_mul_f64_e32 v[112:113], s[2:3], v[102:103]
	v_add_f64_e64 v[84:85], v[42:43], -v[30:31]
	s_mov_b32 s38, 0xeb564b22
	s_mov_b32 s24, 0x910ea3b9
	v_mul_f64_e32 v[114:115], s[6:7], v[100:101]
	s_mov_b32 s39, 0xbfefdd0d
	s_mov_b32 s25, 0xbfeb34fa
	v_add_f64_e64 v[78:79], v[38:39], -v[34:35]
	s_mov_b32 s36, 0x4363dd80
	s_mov_b32 s37, 0xbfe0d888
	v_mul_f64_e32 v[110:111], s[10:11], v[98:99]
	v_mul_hi_u32 v93, 0xaaaaaaab, v122
	v_mul_f64_e32 v[104:105], s[12:13], v[86:87]
	s_delay_alu instid0(VALU_DEP_2) | instskip(SKIP_1) | instid1(VALU_DEP_2)
	v_lshrrev_b32_e32 v93, 1, v93
	v_mul_f64_e32 v[88:89], s[14:15], v[82:83]
	v_lshl_add_u32 v93, v93, 1, v93
	v_mul_f64_e32 v[80:81], s[16:17], v[76:77]
	s_delay_alu instid0(VALU_DEP_2) | instskip(NEXT) | instid1(VALU_DEP_1)
	v_sub_nc_u32_e32 v93, v122, v93
	v_mul_u32_u24_e32 v93, 0x4a6, v93
	v_fma_f64 v[68:69], v[120:121], s[20:21], v[112:113]
	s_delay_alu instid0(VALU_DEP_2)
	v_lshlrev_b32_e32 v93, 3, v93
	v_fma_f64 v[70:71], v[116:117], s[22:23], v[114:115]
	v_fma_f64 v[72:73], v[118:119], s[26:27], v[110:111]
	;; [unrolled: 1-line block ×4, first 2 shown]
	v_add_f64_e32 v[68:69], v[24:25], v[68:69]
	s_delay_alu instid0(VALU_DEP_1) | instskip(SKIP_1) | instid1(VALU_DEP_2)
	v_add_f64_e32 v[68:69], v[70:71], v[68:69]
	v_add_f64_e32 v[70:71], v[28:29], v[40:41]
	;; [unrolled: 1-line block ×3, first 2 shown]
	v_fma_f64 v[72:73], v[106:107], s[30:31], v[88:89]
	s_delay_alu instid0(VALU_DEP_2) | instskip(NEXT) | instid1(VALU_DEP_4)
	v_add_f64_e32 v[68:69], v[74:75], v[68:69]
	v_mul_f64_e32 v[74:75], s[18:19], v[70:71]
	s_delay_alu instid0(VALU_DEP_2) | instskip(SKIP_1) | instid1(VALU_DEP_3)
	v_add_f64_e32 v[72:73], v[72:73], v[68:69]
	v_add_f64_e32 v[68:69], v[32:33], v[36:37]
	v_fma_f64 v[123:124], v[84:85], s[38:39], v[74:75]
	s_delay_alu instid0(VALU_DEP_3) | instskip(SKIP_1) | instid1(VALU_DEP_3)
	v_add_f64_e32 v[96:97], v[96:97], v[72:73]
	s_wait_alu 0xfffe
	v_mul_f64_e32 v[72:73], s[24:25], v[68:69]
	s_delay_alu instid0(VALU_DEP_2) | instskip(NEXT) | instid1(VALU_DEP_2)
	v_add_f64_e32 v[96:97], v[123:124], v[96:97]
	v_fma_f64 v[123:124], v[78:79], s[36:37], v[72:73]
	s_delay_alu instid0(VALU_DEP_1)
	v_add_f64_e32 v[96:97], v[123:124], v[96:97]
	s_and_saveexec_b32 s1, s0
	s_cbranch_execz .LBB0_12
; %bb.11:
	v_add_f64_e32 v[122:123], v[44:45], v[24:25]
	s_mov_b32 s43, 0xbfeec746
	s_mov_b32 s42, s28
	v_mul_f64_e32 v[124:125], s[36:37], v[120:121]
	v_mul_f64_e32 v[128:129], s[22:23], v[120:121]
	v_mul_f64_e32 v[126:127], s[20:21], v[120:121]
	s_mov_b32 s41, 0xbfc7851a
	s_mov_b32 s40, s26
	v_mul_f64_e32 v[130:131], s[38:39], v[120:121]
	v_mul_f64_e32 v[132:133], s[34:35], v[120:121]
	v_mul_f64_e32 v[134:135], s[42:43], v[120:121]
	s_mov_b32 s51, 0xbfe58eea
	v_mul_f64_e32 v[136:137], s[40:41], v[120:121]
	s_mov_b32 s50, s30
	s_mov_b32 s47, 0x3feca52d
	v_mul_f64_e32 v[120:121], s[50:51], v[120:121]
	s_mov_b32 s45, 0x3fd71e95
	s_mov_b32 s44, s34
	;; [unrolled: 1-line block ×5, first 2 shown]
	v_mul_f64_e32 v[148:149], s[22:23], v[116:117]
	v_mul_f64_e32 v[154:155], s[28:29], v[116:117]
	;; [unrolled: 1-line block ×16, first 2 shown]
	s_mov_b32 s49, 0x3fe9895b
	v_add_f64_e32 v[122:123], v[48:49], v[122:123]
	s_mov_b32 s48, s22
	v_mul_f64_e32 v[142:143], s[28:29], v[108:109]
	v_fma_f64 v[162:163], v[102:103], s[24:25], v[124:125]
	v_fma_f64 v[124:125], v[102:103], s[24:25], -v[124:125]
	v_fma_f64 v[172:173], v[102:103], s[6:7], v[128:129]
	v_fma_f64 v[128:129], v[102:103], s[6:7], -v[128:129]
	v_add_f64_e64 v[112:113], v[112:113], -v[126:127]
	v_fma_f64 v[176:177], v[102:103], s[18:19], v[130:131]
	v_fma_f64 v[130:131], v[102:103], s[18:19], -v[130:131]
	v_fma_f64 v[126:127], v[102:103], s[16:17], -v[132:133]
	;; [unrolled: 1-line block ×3, first 2 shown]
	v_fma_f64 v[180:181], v[102:103], s[10:11], v[136:137]
	v_fma_f64 v[136:137], v[102:103], s[10:11], -v[136:137]
	v_fma_f64 v[134:135], v[102:103], s[12:13], v[134:135]
	v_fma_f64 v[182:183], v[102:103], s[14:15], v[120:121]
	v_fma_f64 v[120:121], v[102:103], s[14:15], -v[120:121]
	v_fma_f64 v[102:103], v[102:103], s[16:17], v[132:133]
	v_mul_f64_e32 v[132:133], s[36:37], v[108:109]
	v_mul_f64_e32 v[184:185], s[30:31], v[108:109]
	;; [unrolled: 1-line block ×3, first 2 shown]
	v_add_f64_e64 v[114:115], v[114:115], -v[148:149]
	v_fma_f64 v[148:149], v[100:101], s[12:13], v[154:155]
	v_fma_f64 v[154:155], v[100:101], s[12:13], -v[154:155]
	v_fma_f64 v[190:191], v[100:101], s[18:19], v[156:157]
	v_fma_f64 v[156:157], v[100:101], s[18:19], -v[156:157]
	v_fma_f64 v[192:193], v[100:101], s[16:17], v[158:159]
	v_fma_f64 v[158:159], v[100:101], s[16:17], -v[158:159]
	v_fma_f64 v[194:195], v[100:101], s[2:3], v[160:161]
	v_fma_f64 v[160:161], v[100:101], s[2:3], -v[160:161]
	v_fma_f64 v[196:197], v[100:101], s[24:25], v[164:165]
	v_fma_f64 v[164:165], v[100:101], s[24:25], -v[164:165]
	v_fma_f64 v[198:199], v[100:101], s[10:11], v[168:169]
	v_fma_f64 v[168:169], v[100:101], s[10:11], -v[168:169]
	v_fma_f64 v[200:201], v[100:101], s[14:15], v[116:117]
	v_fma_f64 v[100:101], v[100:101], s[14:15], -v[116:117]
	v_mul_f64_e32 v[188:189], s[38:39], v[108:109]
	v_fma_f64 v[202:203], v[98:99], s[14:15], v[166:167]
	v_add_f64_e32 v[122:123], v[52:53], v[122:123]
	v_fma_f64 v[166:167], v[98:99], s[14:15], -v[166:167]
	v_fma_f64 v[204:205], v[98:99], s[12:13], v[170:171]
	v_add_f64_e32 v[162:163], v[24:25], v[162:163]
	v_add_f64_e32 v[124:125], v[24:25], v[124:125]
	;; [unrolled: 1-line block ×15, first 2 shown]
	v_add_f64_e64 v[102:103], v[110:111], -v[144:145]
	v_fma_f64 v[110:111], v[98:99], s[24:25], v[146:147]
	v_fma_f64 v[144:145], v[98:99], s[24:25], -v[146:147]
	v_fma_f64 v[146:147], v[98:99], s[18:19], v[150:151]
	v_fma_f64 v[150:151], v[98:99], s[18:19], -v[150:151]
	;; [unrolled: 2-line block ×3, first 2 shown]
	v_fma_f64 v[170:171], v[98:99], s[12:13], -v[170:171]
	v_fma_f64 v[206:207], v[98:99], s[6:7], v[174:175]
	v_fma_f64 v[174:175], v[98:99], s[6:7], -v[174:175]
	v_fma_f64 v[208:209], v[98:99], s[2:3], v[118:119]
	v_fma_f64 v[98:99], v[98:99], s[2:3], -v[118:119]
	v_mul_f64_e32 v[118:119], s[48:49], v[108:109]
	s_mov_b32 s53, 0x3fefdd0d
	s_mov_b32 s52, s38
	v_add_f64_e64 v[104:105], v[104:105], -v[142:143]
	v_fma_f64 v[142:143], v[86:87], s[24:25], v[132:133]
	v_fma_f64 v[132:133], v[86:87], s[24:25], -v[132:133]
	v_mul_f64_e32 v[140:141], s[34:35], v[90:91]
	v_mul_f64_e32 v[138:139], s[38:39], v[84:85]
	v_add_f64_e32 v[122:123], v[56:57], v[122:123]
	v_add_f64_e32 v[162:163], v[194:195], v[162:163]
	v_mul_f64_e32 v[194:195], s[44:45], v[108:109]
	v_add_f64_e32 v[124:125], v[160:161], v[124:125]
	v_mul_f64_e32 v[108:109], s[40:41], v[108:109]
	v_add_f64_e32 v[148:149], v[148:149], v[172:173]
	v_add_f64_e32 v[116:117], v[154:155], v[116:117]
	;; [unrolled: 1-line block ×13, first 2 shown]
	v_mul_f64_e32 v[160:161], s[30:31], v[106:107]
	v_mul_f64_e32 v[172:173], s[22:23], v[106:107]
	;; [unrolled: 1-line block ×8, first 2 shown]
	v_fma_f64 v[180:181], v[86:87], s[14:15], v[184:185]
	v_fma_f64 v[184:185], v[86:87], s[14:15], -v[184:185]
	v_fma_f64 v[190:191], v[86:87], s[2:3], v[186:187]
	v_fma_f64 v[186:187], v[86:87], s[2:3], -v[186:187]
	;; [unrolled: 2-line block ×4, first 2 shown]
	v_mul_f64_e32 v[164:165], s[36:37], v[90:91]
	v_add_f64_e64 v[80:81], v[80:81], -v[140:141]
	v_add_f64_e32 v[122:123], v[60:61], v[122:123]
	v_add_f64_e64 v[74:75], v[74:75], -v[138:139]
	v_fma_f64 v[198:199], v[86:87], s[16:17], v[194:195]
	v_fma_f64 v[194:195], v[86:87], s[16:17], -v[194:195]
	v_fma_f64 v[200:201], v[86:87], s[10:11], v[108:109]
	v_fma_f64 v[86:87], v[86:87], s[10:11], -v[108:109]
	v_add_f64_e32 v[108:109], v[146:147], v[162:163]
	v_add_f64_e32 v[124:125], v[150:151], v[124:125]
	;; [unrolled: 1-line block ×15, first 2 shown]
	v_mul_f64_e32 v[134:135], s[28:29], v[90:91]
	v_mul_f64_e32 v[136:137], s[22:23], v[90:91]
	;; [unrolled: 1-line block ×6, first 2 shown]
	v_add_f64_e64 v[88:89], v[88:89], -v[160:161]
	v_fma_f64 v[154:155], v[82:83], s[6:7], v[172:173]
	v_fma_f64 v[160:161], v[82:83], s[6:7], -v[172:173]
	v_fma_f64 v[162:163], v[82:83], s[16:17], v[156:157]
	v_fma_f64 v[156:157], v[82:83], s[16:17], -v[156:157]
	;; [unrolled: 2-line block ×4, first 2 shown]
	v_add_f64_e32 v[122:123], v[64:65], v[122:123]
	v_fma_f64 v[172:173], v[82:83], s[10:11], v[176:177]
	v_fma_f64 v[174:175], v[82:83], s[10:11], -v[176:177]
	v_fma_f64 v[176:177], v[82:83], s[24:25], v[178:179]
	v_fma_f64 v[178:179], v[82:83], s[24:25], -v[178:179]
	v_fma_f64 v[182:183], v[82:83], s[12:13], -v[106:107]
	v_fma_f64 v[82:83], v[82:83], s[12:13], v[106:107]
	v_mul_f64_e32 v[144:145], s[30:31], v[84:85]
	v_add_f64_e32 v[106:107], v[196:197], v[108:109]
	v_add_f64_e32 v[108:109], v[118:119], v[124:125]
	;; [unrolled: 1-line block ×15, first 2 shown]
	v_mul_f64_e32 v[126:127], s[36:37], v[84:85]
	v_mul_f64_e32 v[132:133], s[42:43], v[84:85]
	;; [unrolled: 1-line block ×4, first 2 shown]
	v_fma_f64 v[140:141], v[76:77], s[24:25], v[164:165]
	v_fma_f64 v[164:165], v[76:77], s[24:25], -v[164:165]
	v_fma_f64 v[180:181], v[76:77], s[12:13], v[134:135]
	v_fma_f64 v[134:135], v[76:77], s[12:13], -v[134:135]
	;; [unrolled: 2-line block ×5, first 2 shown]
	v_fma_f64 v[190:191], v[76:77], s[14:15], v[152:153]
	v_add_f64_e32 v[122:123], v[40:41], v[122:123]
	v_fma_f64 v[152:153], v[76:77], s[14:15], -v[152:153]
	v_fma_f64 v[192:193], v[76:77], s[18:19], v[90:91]
	v_fma_f64 v[76:77], v[76:77], s[18:19], -v[90:91]
	v_mul_f64_e32 v[130:131], s[36:37], v[78:79]
	v_fma_f64 v[138:139], v[70:71], s[14:15], v[144:145]
	v_add_f64_e32 v[90:91], v[162:163], v[106:107]
	v_add_f64_e32 v[106:107], v[156:157], v[108:109]
	;; [unrolled: 1-line block ×15, first 2 shown]
	v_mul_f64_e32 v[82:83], s[22:23], v[78:79]
	v_mul_f64_e32 v[128:129], s[52:53], v[78:79]
	;; [unrolled: 1-line block ×5, first 2 shown]
	v_fma_f64 v[144:145], v[70:71], s[14:15], -v[144:145]
	v_fma_f64 v[162:163], v[70:71], s[24:25], v[126:127]
	v_fma_f64 v[126:127], v[70:71], s[24:25], -v[126:127]
	v_fma_f64 v[166:167], v[70:71], s[12:13], v[132:133]
	;; [unrolled: 2-line block ×4, first 2 shown]
	v_fma_f64 v[146:147], v[70:71], s[6:7], -v[146:147]
	v_add_f64_e32 v[122:123], v[36:37], v[122:123]
	v_add_f64_e64 v[72:73], v[72:73], -v[130:131]
	v_add_f64_e32 v[80:81], v[80:81], v[88:89]
	v_add_f64_e32 v[88:89], v[136:137], v[98:99]
	v_add_f64_e32 v[76:77], v[76:77], v[100:101]
	v_add_f64_e32 v[98:99], v[186:187], v[102:103]
	v_add_f64_e32 v[100:101], v[148:149], v[104:105]
	v_add_f64_e32 v[102:103], v[192:193], v[110:111]
	v_add_f64_e32 v[104:105], v[180:181], v[112:113]
	v_add_f64_e32 v[86:87], v[134:135], v[86:87]
	v_add_f64_e32 v[24:25], v[184:185], v[24:25]
	v_fma_f64 v[112:113], v[68:69], s[6:7], v[82:83]
	v_fma_f64 v[82:83], v[68:69], s[6:7], -v[82:83]
	v_fma_f64 v[130:131], v[68:69], s[12:13], v[154:155]
	v_fma_f64 v[134:135], v[68:69], s[12:13], -v[154:155]
	v_fma_f64 v[136:137], v[68:69], s[2:3], v[156:157]
	v_fma_f64 v[148:149], v[68:69], s[16:17], v[158:159]
	v_add_f64_e32 v[122:123], v[32:33], v[122:123]
	v_add_f64_e32 v[74:75], v[74:75], v[80:81]
	;; [unrolled: 1-line block ×8, first 2 shown]
	s_delay_alu instid0(VALU_DEP_2) | instskip(NEXT) | instid1(VALU_DEP_1)
	v_add_f64_e32 v[122:123], v[20:21], v[122:123]
	v_add_f64_e32 v[120:121], v[16:17], v[122:123]
	v_mul_f64_e32 v[122:123], s[34:35], v[84:85]
	v_mul_f64_e32 v[84:85], s[46:47], v[84:85]
	s_delay_alu instid0(VALU_DEP_3)
	v_add_f64_e32 v[114:115], v[12:13], v[120:121]
	v_mul_f64_e32 v[120:121], s[30:31], v[78:79]
	v_mul_f64_e32 v[78:79], s[40:41], v[78:79]
	v_fma_f64 v[160:161], v[70:71], s[16:17], v[122:123]
	v_fma_f64 v[122:123], v[70:71], s[16:17], -v[122:123]
	v_fma_f64 v[172:173], v[70:71], s[2:3], v[84:85]
	v_fma_f64 v[70:71], v[70:71], s[2:3], -v[84:85]
	v_add_f64_e32 v[84:85], v[188:189], v[90:91]
	v_add_f64_e32 v[90:91], v[150:151], v[106:107]
	;; [unrolled: 1-line block ×6, first 2 shown]
	v_fma_f64 v[124:125], v[68:69], s[18:19], v[128:129]
	v_fma_f64 v[128:129], v[68:69], s[18:19], -v[128:129]
	v_fma_f64 v[140:141], v[68:69], s[2:3], -v[156:157]
	;; [unrolled: 1-line block ×3, first 2 shown]
	v_add_f64_e32 v[110:111], v[8:9], v[114:115]
	v_fma_f64 v[114:115], v[68:69], s[14:15], v[120:121]
	v_fma_f64 v[120:121], v[68:69], s[14:15], -v[120:121]
	v_fma_f64 v[152:153], v[68:69], s[10:11], v[78:79]
	v_fma_f64 v[68:69], v[68:69], s[10:11], -v[78:79]
	v_add_f64_e32 v[76:77], v[122:123], v[76:77]
	v_add_f64_e32 v[100:101], v[160:161], v[102:103]
	v_add_f64_e32 v[78:79], v[138:139], v[84:85]
	v_add_f64_e32 v[84:85], v[144:145], v[90:91]
	v_add_f64_e32 v[90:91], v[168:169], v[106:107]
	v_add_f64_e32 v[106:107], v[142:143], v[108:109]
	v_add_f64_e32 v[108:109], v[170:171], v[116:117]
	v_add_f64_e32 v[116:117], v[146:147], v[118:119]
	v_add_f64_e32 v[102:103], v[172:173], v[104:105]
	v_add_f64_e32 v[70:71], v[70:71], v[86:87]
	v_add_f64_e32 v[86:87], v[4:5], v[110:111]
	v_add_f64_e32 v[24:25], v[152:153], v[24:25]
	v_add_f64_e32 v[68:69], v[68:69], v[80:81]
	v_add_f64_e32 v[74:75], v[82:83], v[76:77]
	v_add_f64_e32 v[76:77], v[124:125], v[88:89]
	v_add_f64_e32 v[78:79], v[130:131], v[78:79]
	v_add_f64_e32 v[84:85], v[134:135], v[84:85]
	v_add_f64_e32 v[90:91], v[136:137], v[90:91]
	v_add_f64_e32 v[104:105], v[140:141], v[106:107]
	v_add_f64_e32 v[106:107], v[114:115], v[108:109]
	v_add_f64_e32 v[108:109], v[120:121], v[116:117]
	v_add_f64_e32 v[80:81], v[128:129], v[98:99]
	v_add_f64_e32 v[82:83], v[112:113], v[100:101]
	v_add_f64_e32 v[88:89], v[148:149], v[102:103]
	v_add_f64_e32 v[70:71], v[150:151], v[70:71]
	v_mul_u32_u24_e32 v98, 0x88, v92
	s_delay_alu instid0(VALU_DEP_1)
	v_add3_u32 v98, 0, v98, v93
	v_add_f64_e32 v[86:87], v[0:1], v[86:87]
	ds_store_2addr_b64 v98, v[104:105], v[84:85] offset0:6 offset1:7
	ds_store_2addr_b64 v98, v[108:109], v[74:75] offset0:4 offset1:5
	ds_store_2addr_b64 v98, v[78:79], v[90:91] offset0:10 offset1:11
	ds_store_2addr_b64 v98, v[80:81], v[76:77] offset0:8 offset1:9
	ds_store_2addr_b64 v98, v[82:83], v[106:107] offset0:12 offset1:13
	ds_store_2addr_b64 v98, v[96:97], v[88:89] offset0:14 offset1:15
	ds_store_2addr_b64 v98, v[70:71], v[72:73] offset0:2 offset1:3
	ds_store_2addr_b64 v98, v[86:87], v[68:69] offset1:1
	ds_store_b64 v98, v[24:25] offset:128
.LBB0_12:
	s_wait_alu 0xfffe
	s_or_b32 exec_lo, exec_lo, s1
	v_add_f64_e64 v[126:127], v[44:45], -v[0:1]
	v_add_f64_e32 v[116:117], v[2:3], v[46:47]
	v_add_f64_e64 v[124:125], v[48:49], -v[4:5]
	v_add_f64_e32 v[114:115], v[6:7], v[50:51]
	;; [unrolled: 2-line block ×7, first 2 shown]
	v_add_f64_e64 v[20:21], v[36:37], -v[32:33]
	v_lshlrev_b32_e32 v28, 3, v92
	global_wb scope:SCOPE_SE
	s_wait_dscnt 0x0
	s_barrier_signal -1
	s_barrier_wait -1
	global_inv scope:SCOPE_SE
	v_add_nc_u32_e32 v36, 0, v28
	v_add3_u32 v128, 0, v93, v28
	s_delay_alu instid0(VALU_DEP_2) | instskip(NEXT) | instid1(VALU_DEP_1)
	v_add_nc_u32_e32 v129, v36, v93
	v_add_nc_u32_e32 v130, 0x1000, v129
	;; [unrolled: 1-line block ×6, first 2 shown]
	ds_load_2addr_b64 v[68:71], v130 offset0:83 offset1:168
	v_mul_f64_e32 v[122:123], s[20:21], v[126:127]
	v_mul_f64_e32 v[118:119], s[22:23], v[124:125]
	;; [unrolled: 1-line block ×7, first 2 shown]
	v_fma_f64 v[0:1], v[116:117], s[2:3], -v[122:123]
	v_fma_f64 v[4:5], v[114:115], s[6:7], -v[118:119]
	;; [unrolled: 1-line block ×3, first 2 shown]
	s_delay_alu instid0(VALU_DEP_4) | instskip(NEXT) | instid1(VALU_DEP_4)
	v_fma_f64 v[24:25], v[12:13], s[18:19], -v[16:17]
	v_add_f64_e32 v[0:1], v[26:27], v[0:1]
	s_delay_alu instid0(VALU_DEP_1) | instskip(SKIP_1) | instid1(VALU_DEP_2)
	v_add_f64_e32 v[0:1], v[4:5], v[0:1]
	v_fma_f64 v[4:5], v[102:103], s[12:13], -v[104:105]
	v_add_f64_e32 v[0:1], v[8:9], v[0:1]
	v_fma_f64 v[8:9], v[52:53], s[14:15], -v[56:57]
	s_delay_alu instid0(VALU_DEP_2) | instskip(SKIP_1) | instid1(VALU_DEP_2)
	v_add_f64_e32 v[0:1], v[4:5], v[0:1]
	v_fma_f64 v[4:5], v[44:45], s[16:17], -v[40:41]
	v_add_f64_e32 v[8:9], v[8:9], v[0:1]
	v_add_f64_e32 v[0:1], v[34:35], v[38:39]
	s_delay_alu instid0(VALU_DEP_2) | instskip(SKIP_1) | instid1(VALU_DEP_2)
	v_add_f64_e32 v[4:5], v[4:5], v[8:9]
	v_mul_f64_e32 v[8:9], s[36:37], v[20:21]
	v_add_f64_e32 v[4:5], v[24:25], v[4:5]
	s_delay_alu instid0(VALU_DEP_2) | instskip(NEXT) | instid1(VALU_DEP_1)
	v_fma_f64 v[24:25], v[0:1], s[24:25], -v[8:9]
	v_add_f64_e32 v[98:99], v[24:25], v[4:5]
	ds_load_2addr_b64 v[80:83], v129 offset0:85 offset1:170
	ds_load_2addr_b64 v[76:79], v65 offset0:125 offset1:210
	;; [unrolled: 1-line block ×5, first 2 shown]
	ds_load_b64 v[4:5], v128
	ds_load_b64 v[100:101], v129 offset:8840
	global_wb scope:SCOPE_SE
	s_wait_dscnt 0x0
	s_barrier_signal -1
	s_barrier_wait -1
	global_inv scope:SCOPE_SE
	s_and_saveexec_b32 s33, s0
	s_cbranch_execz .LBB0_14
; %bb.13:
	v_add_f64_e32 v[24:25], v[46:47], v[26:27]
	v_mul_f64_e32 v[32:33], s[16:17], v[44:45]
	s_mov_b32 s16, 0x923c349f
	s_mov_b32 s17, 0xbfeec746
	s_mov_b32 s20, 0x6c9a05f6
	s_mov_b32 s40, 0x4363dd80
	s_mov_b32 s21, 0xbfe9895b
	s_mov_b32 s41, 0xbfe0d888
	s_mov_b32 s28, 0xacd6c6b4
	v_mul_f64_e32 v[46:47], s[2:3], v[116:117]
	s_mov_b32 s29, 0xbfc7851a
	s_wait_alu 0xfffe
	v_mul_f64_e32 v[137:138], s[16:17], v[126:127]
	v_mul_f64_e32 v[139:140], s[20:21], v[126:127]
	;; [unrolled: 1-line block ×3, first 2 shown]
	s_mov_b32 s36, 0x2a9d6da3
	v_mul_f64_e32 v[143:144], s[28:29], v[126:127]
	s_mov_b32 s37, 0xbfe58eea
	s_mov_b32 s0, 0x370991
	;; [unrolled: 1-line block ×11, first 2 shown]
	v_mul_f64_e32 v[28:29], s[18:19], v[12:13]
	s_mov_b32 s23, 0xbfeb34fa
	s_mov_b32 s18, 0x7faef3
	;; [unrolled: 1-line block ×3, first 2 shown]
	v_mul_f64_e32 v[147:148], s[28:29], v[124:125]
	s_wait_alu 0xfffe
	v_mul_f64_e32 v[149:150], s[30:31], v[124:125]
	v_mul_f64_e32 v[151:152], s[46:47], v[124:125]
	;; [unrolled: 1-line block ×3, first 2 shown]
	s_mov_b32 s2, 0x75d4884
	s_mov_b32 s3, 0x3fe7a5f6
	;; [unrolled: 1-line block ×3, first 2 shown]
	v_add_f64_e32 v[24:25], v[50:51], v[24:25]
	v_mul_f64_e32 v[50:51], s[6:7], v[114:115]
	s_mov_b32 s6, 0x3259b75e
	s_mov_b32 s7, 0x3fb79ee6
	;; [unrolled: 1-line block ×7, first 2 shown]
	v_add_f64_e32 v[46:47], v[46:47], v[122:123]
	v_mul_f64_e32 v[153:154], s[20:21], v[120:121]
	s_wait_alu 0xfffe
	v_mul_f64_e32 v[175:176], s[48:49], v[120:121]
	v_mul_f64_e32 v[177:178], s[42:43], v[120:121]
	v_fma_f64 v[165:166], v[116:117], s[22:23], v[141:142]
	v_fma_f64 v[141:142], v[116:117], s[22:23], -v[141:142]
	v_fma_f64 v[167:168], v[116:117], s[18:19], v[143:144]
	v_fma_f64 v[143:144], v[116:117], s[18:19], -v[143:144]
	s_mov_b32 s45, 0x3fe9895b
	s_mov_b32 s44, s20
	v_mul_f64_e32 v[173:174], s[28:29], v[112:113]
	v_mul_f64_e32 v[191:192], s[48:49], v[112:113]
	s_wait_alu 0xfffe
	v_mul_f64_e32 v[193:194], s[44:45], v[112:113]
	v_add_f64_e32 v[32:33], v[32:33], v[40:41]
	v_add_f64_e32 v[16:17], v[28:29], v[16:17]
	v_fma_f64 v[181:182], v[114:115], s[18:19], v[147:148]
	v_fma_f64 v[147:148], v[114:115], s[18:19], -v[147:148]
	v_fma_f64 v[183:184], v[114:115], s[26:27], v[149:150]
	v_fma_f64 v[149:150], v[114:115], s[26:27], -v[149:150]
	;; [unrolled: 2-line block ×3, first 2 shown]
	v_add_f64_e32 v[24:25], v[54:55], v[24:25]
	v_mul_f64_e32 v[54:55], s[10:11], v[108:109]
	s_mov_b32 s10, 0xc61f0d01
	s_mov_b32 s11, 0xbfd183b1
	v_add_f64_e32 v[50:51], v[50:51], v[118:119]
	s_wait_alu 0xfffe
	v_fma_f64 v[161:162], v[116:117], s[10:11], v[137:138]
	v_fma_f64 v[137:138], v[116:117], s[10:11], -v[137:138]
	v_fma_f64 v[187:188], v[114:115], s[10:11], v[155:156]
	v_fma_f64 v[155:156], v[114:115], s[10:11], -v[155:156]
	v_add_f64_e32 v[46:47], v[26:27], v[46:47]
	v_fma_f64 v[201:202], v[108:109], s[26:27], v[175:176]
	v_fma_f64 v[175:176], v[108:109], s[26:27], -v[175:176]
	v_fma_f64 v[203:204], v[108:109], s[10:11], v[177:178]
	v_add_f64_e32 v[141:142], v[26:27], v[141:142]
	v_fma_f64 v[177:178], v[108:109], s[10:11], -v[177:178]
	v_add_f64_e32 v[143:144], v[26:27], v[143:144]
	v_add_f64_e32 v[24:25], v[58:59], v[24:25]
	v_mul_f64_e32 v[58:59], s[12:13], v[102:103]
	s_mov_b32 s12, 0x6ed5f1bb
	s_mov_b32 s13, 0xbfe348c8
	v_add_f64_e32 v[54:55], v[54:55], v[110:111]
	s_wait_alu 0xfffe
	v_fma_f64 v[163:164], v[116:117], s[12:13], v[139:140]
	v_fma_f64 v[139:140], v[116:117], s[12:13], -v[139:140]
	v_add_f64_e32 v[137:138], v[26:27], v[137:138]
	v_fma_f64 v[110:111], v[108:109], s[12:13], v[153:154]
	v_fma_f64 v[153:154], v[108:109], s[12:13], -v[153:154]
	v_add_f64_e32 v[46:47], v[50:51], v[46:47]
	v_add_f64_e32 v[141:142], v[149:150], v[141:142]
	v_mul_f64_e32 v[149:150], s[46:47], v[106:107]
	v_add_f64_e32 v[24:25], v[62:63], v[24:25]
	v_mul_f64_e32 v[62:63], s[14:15], v[52:53]
	s_mov_b32 s15, 0xbfefdd0d
	s_mov_b32 s14, 0xeb564b22
	v_add_f64_e32 v[58:59], v[58:59], v[104:105]
	s_wait_alu 0xfffe
	v_mul_f64_e32 v[135:136], s[14:15], v[126:127]
	v_mul_f64_e32 v[145:146], s[14:15], v[124:125]
	v_add_f64_e32 v[139:140], v[26:27], v[139:140]
	v_mul_f64_e32 v[171:172], s[14:15], v[112:113]
	v_add_f64_e32 v[137:138], v[151:152], v[137:138]
	;; [unrolled: 2-line block ×3, first 2 shown]
	v_add_f64_e32 v[66:67], v[66:67], v[24:25]
	v_mul_f64_e32 v[24:25], s[24:25], v[0:1]
	s_mov_b32 s24, 0x5d8e7cdc
	s_mov_b32 s25, 0xbfd71e95
	s_wait_alu 0xfffe
	s_mov_b32 s34, s24
	v_mul_f64_e32 v[133:134], s[24:25], v[126:127]
	v_mul_f64_e32 v[126:127], s[36:37], v[126:127]
	v_fma_f64 v[159:160], v[116:117], s[6:7], v[135:136]
	v_fma_f64 v[135:136], v[116:117], s[6:7], -v[135:136]
	v_mul_f64_e32 v[157:158], s[24:25], v[120:121]
	v_fma_f64 v[179:180], v[114:115], s[6:7], v[145:146]
	v_fma_f64 v[145:146], v[114:115], s[6:7], -v[145:146]
	v_fma_f64 v[104:105], v[102:103], s[6:7], v[171:172]
	v_add_f64_e32 v[56:57], v[62:63], v[56:57]
	v_add_f64_e32 v[46:47], v[58:59], v[46:47]
	;; [unrolled: 1-line block ×3, first 2 shown]
	v_mul_f64_e32 v[66:67], s[36:37], v[124:125]
	s_wait_alu 0xfffe
	v_mul_f64_e32 v[124:125], s[34:35], v[124:125]
	v_add_f64_e32 v[8:9], v[24:25], v[8:9]
	v_fma_f64 v[122:123], v[116:117], s[0:1], v[133:134]
	v_fma_f64 v[169:170], v[116:117], s[2:3], -v[126:127]
	v_add_f64_e32 v[135:136], v[26:27], v[135:136]
	v_fma_f64 v[195:196], v[108:109], s[0:1], v[157:158]
	v_fma_f64 v[157:158], v[108:109], s[0:1], -v[157:158]
	v_add_f64_e32 v[46:47], v[56:57], v[46:47]
	v_add_f64_e32 v[37:38], v[38:39], v[42:43]
	v_fma_f64 v[42:43], v[116:117], s[2:3], v[126:127]
	v_fma_f64 v[116:117], v[116:117], s[0:1], -v[133:134]
	v_mul_f64_e32 v[126:127], s[14:15], v[120:121]
	v_mul_f64_e32 v[133:134], s[40:41], v[120:121]
	v_mul_f64_e32 v[120:121], s[38:39], v[120:121]
	v_fma_f64 v[118:119], v[114:115], s[2:3], v[66:67]
	v_fma_f64 v[66:67], v[114:115], s[2:3], -v[66:67]
	v_fma_f64 v[189:190], v[114:115], s[0:1], v[124:125]
	v_fma_f64 v[114:115], v[114:115], s[0:1], -v[124:125]
	v_add_f64_e32 v[122:123], v[26:27], v[122:123]
	v_add_f64_e32 v[124:125], v[26:27], v[159:160]
	;; [unrolled: 1-line block ×7, first 2 shown]
	v_mul_f64_e32 v[169:170], s[34:35], v[112:113]
	s_mov_b32 s15, 0x3fefdd0d
	v_add_f64_e32 v[32:33], v[32:33], v[46:47]
	v_add_f64_e32 v[34:35], v[34:35], v[37:38]
	;; [unrolled: 1-line block ×4, first 2 shown]
	v_mul_f64_e32 v[42:43], s[40:41], v[112:113]
	v_mul_f64_e32 v[112:113], s[38:39], v[112:113]
	v_fma_f64 v[197:198], v[108:109], s[6:7], v[126:127]
	v_fma_f64 v[126:127], v[108:109], s[6:7], -v[126:127]
	v_fma_f64 v[199:200], v[108:109], s[22:23], v[133:134]
	v_fma_f64 v[133:134], v[108:109], s[22:23], -v[133:134]
	;; [unrolled: 2-line block ×3, first 2 shown]
	v_add_f64_e32 v[50:51], v[118:119], v[122:123]
	v_add_f64_e32 v[118:119], v[181:182], v[124:125]
	v_add_f64_e32 v[120:121], v[147:148], v[135:136]
	v_add_f64_e32 v[122:123], v[185:186], v[159:160]
	v_add_f64_e32 v[124:125], v[187:188], v[161:162]
	v_add_f64_e32 v[135:136], v[155:156], v[139:140]
	v_add_f64_e32 v[139:140], v[183:184], v[163:164]
	v_add_f64_e32 v[147:148], v[189:190], v[165:166]
	v_add_f64_e32 v[114:115], v[114:115], v[143:144]
	v_add_f64_e32 v[143:144], v[145:146], v[167:168]
	v_mul_f64_e32 v[116:117], s[16:17], v[106:107]
	v_fma_f64 v[155:156], v[102:103], s[6:7], -v[171:172]
	v_fma_f64 v[159:160], v[102:103], s[18:19], v[173:174]
	v_fma_f64 v[161:162], v[102:103], s[18:19], -v[173:174]
	v_fma_f64 v[165:166], v[102:103], s[0:1], v[169:170]
	v_fma_f64 v[167:168], v[102:103], s[0:1], -v[169:170]
	v_fma_f64 v[169:170], v[102:103], s[26:27], v[191:192]
	v_fma_f64 v[171:172], v[102:103], s[26:27], -v[191:192]
	v_fma_f64 v[173:174], v[102:103], s[12:13], v[193:194]
	v_mul_f64_e32 v[145:146], s[20:21], v[106:107]
	v_add_f64_e32 v[16:17], v[16:17], v[32:33]
	v_add_f64_e32 v[30:31], v[30:31], v[34:35]
	;; [unrolled: 1-line block ×4, first 2 shown]
	v_mul_f64_e32 v[37:38], s[28:29], v[106:107]
	v_fma_f64 v[163:164], v[102:103], s[22:23], v[42:43]
	v_fma_f64 v[42:43], v[102:103], s[22:23], -v[42:43]
	v_fma_f64 v[179:180], v[102:103], s[12:13], -v[193:194]
	v_fma_f64 v[181:182], v[102:103], s[2:3], v[112:113]
	v_fma_f64 v[102:103], v[102:103], s[2:3], -v[112:113]
	v_mul_f64_e32 v[66:67], s[24:25], v[106:107]
	s_wait_alu 0xfffe
	v_mul_f64_e32 v[106:107], s[14:15], v[106:107]
	v_add_f64_e32 v[50:51], v[201:202], v[50:51]
	v_add_f64_e32 v[54:55], v[203:204], v[118:119]
	;; [unrolled: 1-line block ×12, first 2 shown]
	v_mul_f64_e32 v[137:138], s[36:37], v[60:61]
	v_mul_f64_e32 v[139:140], s[28:29], v[60:61]
	;; [unrolled: 1-line block ×4, first 2 shown]
	v_fma_f64 v[62:63], v[52:53], s[10:11], v[116:117]
	v_fma_f64 v[177:178], v[52:53], s[26:27], v[151:152]
	v_fma_f64 v[151:152], v[52:53], s[26:27], -v[151:152]
	v_fma_f64 v[116:117], v[52:53], s[10:11], -v[116:117]
	v_fma_f64 v[157:158], v[52:53], s[12:13], v[145:146]
	v_fma_f64 v[145:146], v[52:53], s[12:13], -v[145:146]
	v_add_f64_e32 v[8:9], v[8:9], v[16:17]
	v_add_f64_e32 v[22:23], v[22:23], v[30:31]
	;; [unrolled: 1-line block ×4, first 2 shown]
	v_mul_f64_e32 v[34:35], s[20:21], v[60:61]
	v_mul_f64_e32 v[110:111], s[40:41], v[60:61]
	;; [unrolled: 1-line block ×3, first 2 shown]
	v_fma_f64 v[147:148], v[52:53], s[18:19], v[37:38]
	v_fma_f64 v[37:38], v[52:53], s[18:19], -v[37:38]
	v_fma_f64 v[175:176], v[52:53], s[22:23], v[149:150]
	v_fma_f64 v[153:154], v[52:53], s[0:1], v[66:67]
	v_fma_f64 v[66:67], v[52:53], s[0:1], -v[66:67]
	v_add_f64_e32 v[50:51], v[104:105], v[50:51]
	v_add_f64_e32 v[54:55], v[165:166], v[54:55]
	;; [unrolled: 1-line block ×4, first 2 shown]
	v_fma_f64 v[149:150], v[52:53], s[22:23], -v[149:150]
	v_fma_f64 v[183:184], v[52:53], s[6:7], v[106:107]
	v_fma_f64 v[52:53], v[52:53], s[6:7], -v[106:107]
	v_add_f64_e32 v[106:107], v[163:164], v[120:121]
	v_add_f64_e32 v[42:43], v[42:43], v[122:123]
	v_add_f64_e32 v[112:113], v[173:174], v[124:125]
	v_add_f64_e32 v[118:119], v[181:182], v[135:136]
	v_add_f64_e32 v[102:103], v[102:103], v[114:115]
	v_add_f64_e32 v[114:115], v[179:180], v[126:127]
	v_add_f64_e32 v[108:109], v[171:172], v[108:109]
	v_add_f64_e32 v[120:121], v[161:162], v[133:134]
	v_mul_f64_e32 v[122:123], s[30:31], v[48:49]
	v_mul_f64_e32 v[124:125], s[24:25], v[48:49]
	;; [unrolled: 1-line block ×5, first 2 shown]
	v_fma_f64 v[161:162], v[44:45], s[18:19], v[139:140]
	v_fma_f64 v[139:140], v[44:45], s[18:19], -v[139:140]
	v_fma_f64 v[163:164], v[44:45], s[26:27], v[141:142]
	v_fma_f64 v[141:142], v[44:45], s[26:27], -v[141:142]
	;; [unrolled: 2-line block ×3, first 2 shown]
	v_add_f64_e32 v[18:19], v[18:19], v[22:23]
	v_add_f64_e32 v[22:23], v[159:160], v[30:31]
	;; [unrolled: 1-line block ×3, first 2 shown]
	v_mul_f64_e32 v[30:31], s[40:41], v[48:49]
	v_fma_f64 v[39:40], v[44:45], s[12:13], v[34:35]
	v_fma_f64 v[155:156], v[44:45], s[22:23], v[110:111]
	;; [unrolled: 1-line block ×3, first 2 shown]
	v_mul_f64_e32 v[48:49], s[38:39], v[48:49]
	v_fma_f64 v[34:35], v[44:45], s[12:13], -v[34:35]
	v_fma_f64 v[110:111], v[44:45], s[22:23], -v[110:111]
	v_fma_f64 v[159:160], v[44:45], s[2:3], v[137:138]
	v_add_f64_e32 v[50:51], v[62:63], v[50:51]
	v_add_f64_e32 v[54:55], v[177:178], v[54:55]
	;; [unrolled: 1-line block ×4, first 2 shown]
	v_fma_f64 v[137:138], v[44:45], s[2:3], -v[137:138]
	v_fma_f64 v[44:45], v[44:45], s[6:7], -v[60:61]
	v_add_f64_e32 v[60:61], v[183:184], v[106:107]
	v_add_f64_e32 v[41:42], v[52:53], v[42:43]
	;; [unrolled: 1-line block ×8, first 2 shown]
	v_mul_f64_e32 v[106:107], s[20:21], v[20:21]
	v_mul_f64_e32 v[108:109], s[30:31], v[20:21]
	;; [unrolled: 1-line block ×4, first 2 shown]
	v_fma_f64 v[118:119], v[12:13], s[26:27], v[122:123]
	v_fma_f64 v[120:121], v[12:13], s[26:27], -v[122:123]
	v_fma_f64 v[122:123], v[12:13], s[0:1], v[124:125]
	v_fma_f64 v[149:150], v[12:13], s[12:13], v[135:136]
	v_fma_f64 v[124:125], v[12:13], s[0:1], -v[124:125]
	v_fma_f64 v[145:146], v[12:13], s[18:19], v[126:127]
	v_fma_f64 v[126:127], v[12:13], s[18:19], -v[126:127]
	v_fma_f64 v[147:148], v[12:13], s[10:11], v[133:134]
	v_add_f64_e32 v[14:15], v[14:15], v[18:19]
	v_add_f64_e32 v[18:19], v[175:176], v[22:23]
	v_add_f64_e32 v[22:23], v[116:117], v[26:27]
	v_mul_f64_e32 v[26:27], s[28:29], v[20:21]
	v_mul_f64_e32 v[116:117], s[38:39], v[20:21]
	;; [unrolled: 1-line block ×3, first 2 shown]
	v_fma_f64 v[28:29], v[12:13], s[22:23], v[30:31]
	v_fma_f64 v[30:31], v[12:13], s[22:23], -v[30:31]
	v_fma_f64 v[133:134], v[12:13], s[10:11], -v[133:134]
	;; [unrolled: 1-line block ×3, first 2 shown]
	v_fma_f64 v[151:152], v[12:13], s[2:3], v[48:49]
	v_add_f64_e32 v[39:40], v[39:40], v[50:51]
	v_add_f64_e32 v[46:47], v[155:156], v[54:55]
	v_fma_f64 v[12:13], v[12:13], s[2:3], -v[48:49]
	v_add_f64_e32 v[50:51], v[167:168], v[58:59]
	v_add_f64_e32 v[48:49], v[110:111], v[56:57]
	;; [unrolled: 1-line block ×10, first 2 shown]
	v_fma_f64 v[62:63], v[0:1], s[26:27], v[108:109]
	v_fma_f64 v[66:67], v[0:1], s[26:27], -v[108:109]
	v_fma_f64 v[102:103], v[0:1], s[10:11], v[112:113]
	v_fma_f64 v[104:105], v[0:1], s[10:11], -v[112:113]
	v_fma_f64 v[108:109], v[0:1], s[0:1], -v[114:115]
	v_add_f64_e32 v[10:11], v[10:11], v[14:15]
	v_add_f64_e32 v[14:15], v[165:166], v[18:19]
	;; [unrolled: 1-line block ×3, first 2 shown]
	v_fma_f64 v[22:23], v[0:1], s[18:19], v[26:27]
	v_fma_f64 v[24:25], v[0:1], s[18:19], -v[26:27]
	v_fma_f64 v[26:27], v[0:1], s[12:13], v[106:107]
	v_fma_f64 v[34:35], v[0:1], s[12:13], -v[106:107]
	v_fma_f64 v[106:107], v[0:1], s[0:1], v[114:115]
	v_fma_f64 v[110:111], v[0:1], s[2:3], v[116:117]
	v_fma_f64 v[112:113], v[0:1], s[2:3], -v[116:117]
	v_fma_f64 v[114:115], v[0:1], s[6:7], v[20:21]
	v_fma_f64 v[0:1], v[0:1], s[6:7], -v[20:21]
	v_add_f64_e32 v[20:21], v[28:29], v[39:40]
	v_add_f64_e32 v[28:29], v[149:150], v[46:47]
	;; [unrolled: 1-line block ×30, first 2 shown]
	v_lshlrev_b32_e32 v14, 7, v92
	s_delay_alu instid0(VALU_DEP_1)
	v_add3_u32 v14, v36, v14, v93
	ds_store_2addr_b64 v14, v[18:19], v[22:23] offset0:4 offset1:5
	ds_store_2addr_b64 v14, v[26:27], v[30:31] offset0:6 offset1:7
	;; [unrolled: 1-line block ×6, first 2 shown]
	ds_store_2addr_b64 v14, v[2:3], v[16:17] offset1:1
	ds_store_2addr_b64 v14, v[6:7], v[8:9] offset0:2 offset1:3
	ds_store_b64 v14, v[10:11] offset:128
.LBB0_14:
	s_or_b32 exec_lo, exec_lo, s33
	v_add_nc_u32_e32 v106, 0x55, v92
	v_and_b32_e32 v0, 0xff, v92
	v_add_nc_u16 v107, v92, 0xaa
	v_add_nc_u32_e32 v6, 0xff, v92
	v_add_nc_u32_e32 v7, 0x154, v92
	v_and_b32_e32 v1, 0xff, v106
	v_mul_lo_u16 v110, 0xf1, v0
	v_and_b32_e32 v0, 0xff, v107
	v_add_nc_u32_e32 v8, 0x1a9, v92
	v_add_nc_u32_e32 v9, 0x1fe, v92
	v_mul_lo_u16 v108, 0xf1, v1
	v_lshrrev_b16 v34, 12, v110
	v_and_b32_e32 v1, 0xffff, v6
	v_mul_lo_u16 v109, 0xf1, v0
	v_and_b32_e32 v2, 0xffff, v7
	v_lshrrev_b16 v111, 12, v108
	v_mul_lo_u16 v3, v34, 17
	v_and_b32_e32 v11, 0xffff, v8
	v_and_b32_e32 v12, 0xffff, v9
	v_mul_u32_u24_e32 v1, 0xf0f1, v1
	v_mul_lo_u16 v10, v111, 17
	v_sub_nc_u16 v0, v92, v3
	v_mul_u32_u24_e32 v2, 0xf0f1, v2
	v_lshrrev_b16 v114, 12, v109
	v_lshrrev_b32_e32 v115, 20, v1
	v_sub_nc_u16 v3, v106, v10
	v_and_b32_e32 v112, 0xff, v0
	v_mul_u32_u24_e32 v10, 0xf0f1, v11
	v_mul_u32_u24_e32 v0, 0xf0f1, v12
	v_lshrrev_b32_e32 v116, 20, v2
	v_and_b32_e32 v113, 0xff, v3
	v_lshlrev_b32_e32 v1, 4, v112
	v_lshrrev_b32_e32 v117, 20, v10
	v_lshrrev_b32_e32 v122, 20, v0
	v_mul_lo_u16 v10, v114, 17
	v_lshlrev_b32_e32 v11, 4, v113
	global_wb scope:SCOPE_SE
	s_wait_dscnt 0x0
	s_barrier_signal -1
	s_barrier_wait -1
	global_inv scope:SCOPE_SE
	s_clause 0x1
	global_load_b128 v[0:3], v1, s[4:5]
	global_load_b128 v[12:15], v11, s[4:5]
	v_mul_lo_u16 v11, v115, 17
	v_mul_lo_u16 v16, v116, 17
	;; [unrolled: 1-line block ×4, first 2 shown]
	v_sub_nc_u16 v10, v107, v10
	v_sub_nc_u16 v6, v6, v11
	;; [unrolled: 1-line block ×5, first 2 shown]
	v_and_b32_e32 v123, 0xff, v10
	v_and_b32_e32 v124, 0xffff, v6
	;; [unrolled: 1-line block ×5, first 2 shown]
	v_lshlrev_b32_e32 v6, 4, v123
	v_lshlrev_b32_e32 v7, 4, v124
	;; [unrolled: 1-line block ×5, first 2 shown]
	s_clause 0x4
	global_load_b128 v[20:23], v6, s[4:5]
	global_load_b128 v[36:39], v7, s[4:5]
	;; [unrolled: 1-line block ×5, first 2 shown]
	ds_load_2addr_b64 v[60:63], v130 offset0:83 offset1:168
	ds_load_2addr_b64 v[56:59], v65 offset0:125 offset1:210
	;; [unrolled: 1-line block ×3, first 2 shown]
	ds_load_b64 v[102:103], v129 offset:8840
	v_and_b32_e32 v133, 0xffff, v34
	v_cmp_gt_u32_e64 s0, 0x44, v92
	s_wait_loadcnt_dscnt 0x603
	v_mul_f64_e32 v[6:7], v[60:61], v[2:3]
	s_wait_loadcnt 0x5
	v_mul_f64_e32 v[8:9], v[62:63], v[14:15]
	s_wait_loadcnt_dscnt 0x402
	v_mul_f64_e32 v[10:11], v[56:57], v[22:23]
	s_wait_loadcnt 0x3
	v_mul_f64_e32 v[16:17], v[58:59], v[38:39]
	s_wait_loadcnt_dscnt 0x201
	v_mul_f64_e32 v[18:19], v[52:53], v[42:43]
	s_wait_loadcnt 0x1
	v_mul_f64_e32 v[24:25], v[54:55], v[46:47]
	s_wait_loadcnt_dscnt 0x0
	v_mul_f64_e32 v[26:27], v[102:103], v[50:51]
	v_fma_f64 v[6:7], v[68:69], v[0:1], -v[6:7]
	v_fma_f64 v[8:9], v[70:71], v[12:13], -v[8:9]
	;; [unrolled: 1-line block ×7, first 2 shown]
	v_add_f64_e64 v[28:29], v[4:5], -v[6:7]
	v_add_f64_e64 v[30:31], v[80:81], -v[8:9]
	;; [unrolled: 1-line block ×7, first 2 shown]
	v_fma_f64 v[24:25], v[4:5], 2.0, -v[28:29]
	v_fma_f64 v[26:27], v[80:81], 2.0, -v[30:31]
	;; [unrolled: 1-line block ×7, first 2 shown]
	v_mad_u32_u24 v88, 0x110, v133, 0
	v_and_b32_e32 v89, 0xffff, v111
	v_lshlrev_b32_e32 v111, 3, v112
	v_and_b32_e32 v90, 0xffff, v114
	v_mad_u32_u24 v91, 0x110, v115, 0
	v_lshlrev_b32_e32 v114, 3, v124
	v_mad_u32_u24 v89, 0x110, v89, 0
	v_add3_u32 v111, v88, v111, v93
	v_lshlrev_b32_e32 v88, 3, v113
	v_mad_u32_u24 v90, 0x110, v90, 0
	v_lshlrev_b32_e32 v113, 3, v123
	v_mad_u32_u24 v115, 0x110, v116, 0
	v_mad_u32_u24 v116, 0x110, v117, 0
	;; [unrolled: 1-line block ×3, first 2 shown]
	v_lshlrev_b32_e32 v122, 3, v125
	v_lshlrev_b32_e32 v123, 3, v126
	;; [unrolled: 1-line block ×3, first 2 shown]
	v_add3_u32 v112, v89, v88, v93
	v_add3_u32 v113, v90, v113, v93
	;; [unrolled: 1-line block ×4, first 2 shown]
	ds_load_b64 v[104:105], v128
	ds_load_2addr_b64 v[84:87], v129 offset0:85 offset1:170
	ds_load_2addr_b64 v[80:83], v64 offset0:127 offset1:212
	;; [unrolled: 1-line block ×3, first 2 shown]
	global_wb scope:SCOPE_SE
	s_wait_dscnt 0x0
	s_barrier_signal -1
	s_barrier_wait -1
	global_inv scope:SCOPE_SE
	v_add3_u32 v116, v116, v123, v93
	v_add3_u32 v117, v117, v124, v93
	ds_store_2addr_b64 v111, v[24:25], v[28:29] offset1:17
	ds_store_2addr_b64 v112, v[26:27], v[30:31] offset1:17
	;; [unrolled: 1-line block ×7, first 2 shown]
	global_wb scope:SCOPE_SE
	s_wait_dscnt 0x0
	s_barrier_signal -1
	s_barrier_wait -1
	global_inv scope:SCOPE_SE
	ds_load_2addr_b64 v[16:19], v129 offset0:85 offset1:238
	ds_load_2addr_b64 v[24:27], v132 offset0:67 offset1:220
	;; [unrolled: 1-line block ×4, first 2 shown]
	ds_load_b64 v[88:89], v128
	ds_load_b64 v[90:91], v129 offset:8296
	s_and_saveexec_b32 s1, s0
	s_cbranch_execz .LBB0_16
; %bb.15:
	v_add_nc_u32_e32 v4, 0x500, v129
	v_add_nc_u32_e32 v8, 0x1400, v129
	ds_load_2addr_b64 v[4:7], v4 offset0:10 offset1:248
	ds_load_2addr_b64 v[8:11], v8 offset0:6 offset1:244
	ds_load_b64 v[96:97], v129 offset:8976
.LBB0_16:
	s_wait_alu 0xfffe
	s_or_b32 exec_lo, exec_lo, s1
	v_mul_f64_e32 v[2:3], v[68:69], v[2:3]
	v_mul_f64_e32 v[14:15], v[70:71], v[14:15]
	;; [unrolled: 1-line block ×7, first 2 shown]
	global_wb scope:SCOPE_SE
	s_wait_dscnt 0x0
	s_barrier_signal -1
	s_barrier_wait -1
	global_inv scope:SCOPE_SE
	v_fma_f64 v[0:1], v[60:61], v[0:1], v[2:3]
	v_fma_f64 v[2:3], v[62:63], v[12:13], v[14:15]
	;; [unrolled: 1-line block ×7, first 2 shown]
	v_add_nc_u32_e32 v52, 0x800, v129
	v_add_nc_u32_e32 v53, 0x1000, v129
	;; [unrolled: 1-line block ×3, first 2 shown]
	v_add_f64_e64 v[38:39], v[104:105], -v[0:1]
	v_add_f64_e64 v[40:41], v[84:85], -v[2:3]
	;; [unrolled: 1-line block ×7, first 2 shown]
	v_fma_f64 v[36:37], v[104:105], 2.0, -v[38:39]
	v_fma_f64 v[44:45], v[84:85], 2.0, -v[40:41]
	;; [unrolled: 1-line block ×7, first 2 shown]
	ds_store_2addr_b64 v111, v[36:37], v[38:39] offset1:17
	ds_store_2addr_b64 v112, v[44:45], v[40:41] offset1:17
	;; [unrolled: 1-line block ×7, first 2 shown]
	global_wb scope:SCOPE_SE
	s_wait_dscnt 0x0
	s_barrier_signal -1
	s_barrier_wait -1
	global_inv scope:SCOPE_SE
	ds_load_2addr_b64 v[12:15], v129 offset0:85 offset1:238
	ds_load_2addr_b64 v[40:43], v52 offset0:67 offset1:220
	ds_load_2addr_b64 v[44:47], v53 offset0:49 offset1:202
	ds_load_2addr_b64 v[36:39], v54 offset0:31 offset1:184
	ds_load_b64 v[48:49], v128
	ds_load_b64 v[62:63], v129 offset:8296
	s_and_saveexec_b32 s1, s0
	s_cbranch_execz .LBB0_18
; %bb.17:
	v_add_nc_u32_e32 v0, 0x500, v129
	v_add_nc_u32_e32 v20, 0x1400, v129
	ds_load_2addr_b64 v[0:3], v0 offset0:10 offset1:248
	ds_load_2addr_b64 v[20:23], v20 offset0:6 offset1:244
	ds_load_b64 v[98:99], v129 offset:8976
.LBB0_18:
	s_wait_alu 0xfffe
	s_or_b32 exec_lo, exec_lo, s1
	v_lshrrev_b16 v134, 13, v110
	v_lshrrev_b16 v135, 13, v108
	v_lshrrev_b16 v138, 13, v109
	s_mov_b32 s2, 0x134454ff
	s_mov_b32 s3, 0x3fee6f0e
	v_mul_lo_u16 v50, v134, 34
	v_mul_lo_u16 v51, v135, 34
	s_mov_b32 s7, 0xbfee6f0e
	s_wait_alu 0xfffe
	s_mov_b32 s6, s2
	s_mov_b32 s10, 0x4755a5e
	v_sub_nc_u16 v50, v92, v50
	v_sub_nc_u16 v51, v106, v51
	s_mov_b32 s11, 0x3fe2cf23
	s_mov_b32 s13, 0xbfe2cf23
	s_wait_alu 0xfffe
	s_mov_b32 s12, s10
	v_and_b32_e32 v136, 0xff, v50
	v_and_b32_e32 v137, 0xff, v51
	s_mov_b32 s14, 0x372fe950
	s_mov_b32 s15, 0x3fd3c6ef
	s_delay_alu instid0(VALU_DEP_2) | instskip(NEXT) | instid1(VALU_DEP_2)
	v_lshlrev_b32_e32 v50, 6, v136
	v_lshlrev_b32_e32 v51, 6, v137
	s_clause 0x7
	global_load_b128 v[64:67], v50, s[4:5] offset:272
	global_load_b128 v[68:71], v50, s[4:5] offset:288
	global_load_b128 v[72:75], v50, s[4:5] offset:304
	global_load_b128 v[76:79], v50, s[4:5] offset:320
	global_load_b128 v[80:83], v51, s[4:5] offset:272
	global_load_b128 v[84:87], v51, s[4:5] offset:288
	global_load_b128 v[100:103], v51, s[4:5] offset:304
	global_load_b128 v[110:113], v51, s[4:5] offset:320
	v_mul_lo_u16 v50, v138, 34
	s_delay_alu instid0(VALU_DEP_1) | instskip(NEXT) | instid1(VALU_DEP_1)
	v_sub_nc_u16 v50, v107, v50
	v_and_b32_e32 v139, 0xff, v50
	s_delay_alu instid0(VALU_DEP_1)
	v_lshlrev_b32_e32 v50, 6, v139
	s_clause 0x3
	global_load_b128 v[114:117], v50, s[4:5] offset:272
	global_load_b128 v[118:121], v50, s[4:5] offset:288
	;; [unrolled: 1-line block ×4, first 2 shown]
	global_wb scope:SCOPE_SE
	s_wait_loadcnt_dscnt 0x0
	s_barrier_signal -1
	s_barrier_wait -1
	global_inv scope:SCOPE_SE
	v_mul_f64_e32 v[50:51], v[14:15], v[66:67]
	v_mul_f64_e32 v[52:53], v[42:43], v[70:71]
	;; [unrolled: 1-line block ×16, first 2 shown]
	v_fma_f64 v[50:51], v[18:19], v[64:65], -v[50:51]
	v_fma_f64 v[52:53], v[26:27], v[68:69], -v[52:53]
	v_fma_f64 v[56:57], v[30:31], v[72:73], -v[54:55]
	v_fma_f64 v[58:59], v[34:35], v[76:77], -v[58:59]
	v_fma_f64 v[54:55], v[24:25], v[80:81], -v[60:61]
	v_fma_f64 v[34:35], v[28:29], v[84:85], -v[104:105]
	v_fma_f64 v[32:33], v[32:33], v[100:101], -v[107:108]
	v_fma_f64 v[60:61], v[90:91], v[110:111], -v[126:127]
	v_fma_f64 v[30:31], v[14:15], v[64:65], v[66:67]
	v_fma_f64 v[24:25], v[42:43], v[68:69], v[70:71]
	;; [unrolled: 1-line block ×8, first 2 shown]
	v_mul_f64_e32 v[104:105], v[2:3], v[116:117]
	v_mul_f64_e32 v[107:108], v[6:7], v[116:117]
	;; [unrolled: 1-line block ×7, first 2 shown]
	v_add_f64_e32 v[46:47], v[88:89], v[50:51]
	v_add_f64_e64 v[76:77], v[52:53], -v[50:51]
	v_add_f64_e32 v[40:41], v[52:53], v[56:57]
	v_add_f64_e32 v[42:43], v[50:51], v[58:59]
	;; [unrolled: 1-line block ×3, first 2 shown]
	v_add_f64_e64 v[74:75], v[58:59], -v[56:57]
	v_add_f64_e32 v[36:37], v[34:35], v[32:33]
	v_add_f64_e32 v[44:45], v[54:55], v[60:61]
	v_add_f64_e64 v[78:79], v[56:57], -v[58:59]
	v_add_f64_e64 v[80:81], v[54:55], -v[34:35]
	;; [unrolled: 1-line block ×9, first 2 shown]
	v_add_f64_e32 v[46:47], v[46:47], v[52:53]
	v_fma_f64 v[40:41], v[40:41], -0.5, v[88:89]
	v_fma_f64 v[42:43], v[42:43], -0.5, v[88:89]
	v_add_f64_e32 v[66:67], v[66:67], v[34:35]
	v_fma_f64 v[36:37], v[36:37], -0.5, v[16:17]
	v_fma_f64 v[16:17], v[44:45], -0.5, v[16:17]
	v_add_f64_e64 v[44:45], v[50:51], -v[52:53]
	v_add_f64_e32 v[76:77], v[76:77], v[78:79]
	v_add_f64_e32 v[78:79], v[80:81], v[82:83]
	v_add_f64_e32 v[80:81], v[84:85], v[86:87]
	v_add_f64_e32 v[82:83], v[46:47], v[56:57]
	v_fma_f64 v[46:47], v[6:7], v[114:115], -v[104:105]
	v_fma_f64 v[88:89], v[62:63], s[2:3], v[40:41]
	v_fma_f64 v[40:41], v[62:63], s[6:7], v[40:41]
	;; [unrolled: 1-line block ×8, first 2 shown]
	v_add_f64_e32 v[74:75], v[44:45], v[74:75]
	v_add_f64_e32 v[84:85], v[66:67], v[32:33]
	v_fma_f64 v[44:45], v[2:3], v[114:115], v[107:108]
	v_fma_f64 v[66:67], v[96:97], v[130:131], -v[124:125]
	v_add_f64_e32 v[2:3], v[82:83], v[58:59]
	v_lshlrev_b32_e32 v82, 3, v137
	v_fma_f64 v[86:87], v[64:65], s[10:11], v[88:89]
	s_wait_alu 0xfffe
	v_fma_f64 v[40:41], v[64:65], s[12:13], v[40:41]
	v_fma_f64 v[88:89], v[62:63], s[10:11], v[90:91]
	;; [unrolled: 1-line block ×7, first 2 shown]
	v_mul_f64_e32 v[72:73], v[96:97], v[132:133]
	v_fma_f64 v[62:63], v[8:9], v[118:119], -v[109:110]
	v_fma_f64 v[42:43], v[20:21], v[118:119], v[111:112]
	v_fma_f64 v[64:65], v[10:11], v[122:123], -v[116:117]
	v_fma_f64 v[36:37], v[22:23], v[122:123], v[120:121]
	v_add_f64_e32 v[6:7], v[84:85], v[60:61]
	v_fma_f64 v[8:9], v[74:75], s[14:15], v[86:87]
	v_fma_f64 v[10:11], v[74:75], s[14:15], v[40:41]
	;; [unrolled: 1-line block ×9, first 2 shown]
	v_and_b32_e32 v71, 0xffff, v134
	v_and_b32_e32 v72, 0xffff, v135
	v_lshlrev_b32_e32 v80, 3, v136
	v_and_b32_e32 v70, 0xffff, v138
	s_delay_alu instid0(VALU_DEP_4) | instskip(NEXT) | instid1(VALU_DEP_4)
	v_mad_u32_u24 v73, 0x550, v71, 0
	v_mad_u32_u24 v81, 0x550, v72, 0
	v_lshlrev_b32_e32 v71, 3, v139
	s_delay_alu instid0(VALU_DEP_3) | instskip(NEXT) | instid1(VALU_DEP_3)
	v_add3_u32 v72, v73, v80, v93
	v_add3_u32 v73, v81, v82, v93
	ds_store_2addr_b64 v72, v[2:3], v[8:9] offset1:34
	ds_store_2addr_b64 v72, v[20:21], v[22:23] offset0:68 offset1:102
	ds_store_b64 v72, v[10:11] offset:1088
	ds_store_2addr_b64 v73, v[6:7], v[74:75] offset1:34
	ds_store_2addr_b64 v73, v[76:77], v[16:17] offset0:68 offset1:102
	ds_store_b64 v73, v[78:79] offset:1088
	s_and_saveexec_b32 s1, s0
	s_cbranch_execz .LBB0_20
; %bb.19:
	v_add_f64_e32 v[2:3], v[46:47], v[66:67]
	v_add_f64_e32 v[6:7], v[62:63], v[64:65]
	v_add_f64_e64 v[10:11], v[44:45], -v[40:41]
	v_add_f64_e32 v[16:17], v[4:5], v[46:47]
	v_add_f64_e64 v[8:9], v[42:43], -v[36:37]
	v_add_f64_e64 v[20:21], v[64:65], -v[66:67]
	;; [unrolled: 1-line block ×4, first 2 shown]
	v_fma_f64 v[2:3], v[2:3], -0.5, v[4:5]
	v_fma_f64 v[4:5], v[6:7], -0.5, v[4:5]
	v_add_f64_e64 v[6:7], v[62:63], -v[46:47]
	v_add_f64_e32 v[16:17], v[16:17], v[62:63]
	s_delay_alu instid0(VALU_DEP_4) | instskip(NEXT) | instid1(VALU_DEP_4)
	v_fma_f64 v[76:77], v[8:9], s[2:3], v[2:3]
	v_fma_f64 v[78:79], v[10:11], s[2:3], v[4:5]
	;; [unrolled: 1-line block ×4, first 2 shown]
	v_add_f64_e32 v[6:7], v[6:7], v[20:21]
	v_add_f64_e32 v[20:21], v[22:23], v[74:75]
	;; [unrolled: 1-line block ×3, first 2 shown]
	v_fma_f64 v[22:23], v[10:11], s[12:13], v[76:77]
	v_fma_f64 v[74:75], v[8:9], s[10:11], v[78:79]
	;; [unrolled: 1-line block ×4, first 2 shown]
	v_add_f64_e32 v[8:9], v[16:17], v[66:67]
	v_fma_f64 v[10:11], v[6:7], s[14:15], v[22:23]
	v_fma_f64 v[16:17], v[20:21], s[14:15], v[74:75]
	;; [unrolled: 1-line block ×4, first 2 shown]
	v_mad_u32_u24 v6, 0x550, v70, 0
	s_delay_alu instid0(VALU_DEP_1)
	v_add3_u32 v6, v6, v71, v93
	ds_store_2addr_b64 v6, v[8:9], v[16:17] offset1:34
	ds_store_2addr_b64 v6, v[2:3], v[10:11] offset0:68 offset1:102
	ds_store_b64 v6, v[4:5] offset:1088
.LBB0_20:
	s_wait_alu 0xfffe
	s_or_b32 exec_lo, exec_lo, s1
	v_add_f64_e32 v[2:3], v[24:25], v[18:19]
	v_add_f64_e32 v[4:5], v[30:31], v[14:15]
	;; [unrolled: 1-line block ×5, first 2 shown]
	v_add_f64_e64 v[16:17], v[50:51], -v[58:59]
	v_add_f64_e32 v[22:23], v[12:13], v[28:29]
	v_add_f64_e64 v[20:21], v[52:53], -v[56:57]
	v_add_f64_e64 v[50:51], v[54:55], -v[60:61]
	v_add_f64_e64 v[32:33], v[34:35], -v[32:33]
	v_add_f64_e64 v[34:35], v[14:15], -v[18:19]
	v_add_f64_e64 v[52:53], v[28:29], -v[26:27]
	v_add_f64_e64 v[28:29], v[26:27], -v[28:29]
	v_add_f64_e64 v[54:55], v[38:39], -v[68:69]
	v_add_f64_e64 v[56:57], v[68:69], -v[38:39]
	global_wb scope:SCOPE_SE
	s_wait_dscnt 0x0
	s_barrier_signal -1
	s_barrier_wait -1
	global_inv scope:SCOPE_SE
	v_fma_f64 v[2:3], v[2:3], -0.5, v[48:49]
	v_fma_f64 v[4:5], v[4:5], -0.5, v[48:49]
	v_fma_f64 v[6:7], v[6:7], -0.5, v[12:13]
	v_fma_f64 v[8:9], v[8:9], -0.5, v[12:13]
	v_add_f64_e64 v[12:13], v[30:31], -v[24:25]
	v_add_f64_e64 v[30:31], v[24:25], -v[30:31]
	v_add_f64_e32 v[10:11], v[10:11], v[24:25]
	v_add_f64_e32 v[22:23], v[22:23], v[26:27]
	v_add_f64_e64 v[48:49], v[18:19], -v[14:15]
	v_add_f64_e32 v[28:29], v[28:29], v[56:57]
	v_fma_f64 v[24:25], v[16:17], s[6:7], v[2:3]
	v_fma_f64 v[2:3], v[16:17], s[2:3], v[2:3]
	v_fma_f64 v[26:27], v[20:21], s[2:3], v[4:5]
	v_fma_f64 v[4:5], v[20:21], s[6:7], v[4:5]
	v_fma_f64 v[58:59], v[50:51], s[6:7], v[6:7]
	v_fma_f64 v[60:61], v[32:33], s[2:3], v[8:9]
	v_fma_f64 v[8:9], v[32:33], s[6:7], v[8:9]
	v_fma_f64 v[6:7], v[50:51], s[2:3], v[6:7]
	v_add_f64_e32 v[12:13], v[12:13], v[34:35]
	v_add_f64_e32 v[10:11], v[10:11], v[18:19]
	;; [unrolled: 1-line block ×5, first 2 shown]
	v_fma_f64 v[22:23], v[20:21], s[12:13], v[24:25]
	v_fma_f64 v[2:3], v[20:21], s[10:11], v[2:3]
	v_fma_f64 v[20:21], v[16:17], s[12:13], v[26:27]
	v_fma_f64 v[4:5], v[16:17], s[10:11], v[4:5]
	v_fma_f64 v[16:17], v[32:33], s[12:13], v[58:59]
	v_fma_f64 v[24:25], v[50:51], s[12:13], v[60:61]
	v_fma_f64 v[8:9], v[50:51], s[10:11], v[8:9]
	v_fma_f64 v[6:7], v[32:33], s[10:11], v[6:7]
	v_add_f64_e32 v[32:33], v[10:11], v[14:15]
	v_add_f64_e32 v[38:39], v[18:19], v[38:39]
	v_add_nc_u32_e32 v10, 0x1000, v129
	v_add_nc_u32_e32 v18, 0x1400, v129
	v_fma_f64 v[48:49], v[12:13], s[14:15], v[22:23]
	v_fma_f64 v[50:51], v[12:13], s[14:15], v[2:3]
	;; [unrolled: 1-line block ×8, first 2 shown]
	v_add_nc_u32_e32 v6, 0x400, v129
	v_add_nc_u32_e32 v7, 0x800, v129
	;; [unrolled: 1-line block ×3, first 2 shown]
	ds_load_2addr_b64 v[2:5], v129 offset0:85 offset1:170
	ds_load_b64 v[26:27], v128
	ds_load_b64 v[28:29], v129 offset:8840
	ds_load_2addr_b64 v[14:17], v6 offset0:127 offset1:212
	ds_load_2addr_b64 v[6:9], v7 offset0:169 offset1:254
	;; [unrolled: 1-line block ×5, first 2 shown]
	global_wb scope:SCOPE_SE
	s_wait_dscnt 0x0
	s_barrier_signal -1
	s_barrier_wait -1
	global_inv scope:SCOPE_SE
	ds_store_2addr_b64 v72, v[32:33], v[48:49] offset1:34
	ds_store_2addr_b64 v72, v[52:53], v[30:31] offset0:68 offset1:102
	ds_store_b64 v72, v[50:51] offset:1088
	ds_store_2addr_b64 v73, v[38:39], v[54:55] offset1:34
	ds_store_2addr_b64 v73, v[56:57], v[58:59] offset0:68 offset1:102
	ds_store_b64 v73, v[34:35] offset:1088
	s_and_saveexec_b32 s1, s0
	s_cbranch_execz .LBB0_22
; %bb.21:
	v_add_f64_e32 v[30:31], v[42:43], v[36:37]
	v_add_f64_e32 v[32:33], v[44:45], v[40:41]
	;; [unrolled: 1-line block ×3, first 2 shown]
	v_add_f64_e64 v[38:39], v[46:47], -v[66:67]
	v_add_f64_e64 v[46:47], v[62:63], -v[64:65]
	s_mov_b32 s2, 0x134454ff
	s_mov_b32 s3, 0xbfee6f0e
	;; [unrolled: 1-line block ×3, first 2 shown]
	s_wait_alu 0xfffe
	s_mov_b32 s6, s2
	v_add_f64_e64 v[48:49], v[40:41], -v[36:37]
	v_add_f64_e64 v[50:51], v[36:37], -v[40:41]
	v_fma_f64 v[30:31], v[30:31], -0.5, v[0:1]
	v_fma_f64 v[0:1], v[32:33], -0.5, v[0:1]
	v_add_f64_e64 v[32:33], v[44:45], -v[42:43]
	v_add_f64_e64 v[44:45], v[42:43], -v[44:45]
	v_add_f64_e32 v[34:35], v[34:35], v[42:43]
	v_fma_f64 v[42:43], v[38:39], s[2:3], v[30:31]
	s_wait_alu 0xfffe
	v_fma_f64 v[52:53], v[46:47], s[6:7], v[0:1]
	v_fma_f64 v[0:1], v[46:47], s[2:3], v[0:1]
	;; [unrolled: 1-line block ×3, first 2 shown]
	s_mov_b32 s2, 0x4755a5e
	s_mov_b32 s3, 0xbfe2cf23
	;; [unrolled: 1-line block ×3, first 2 shown]
	s_wait_alu 0xfffe
	s_mov_b32 s6, s2
	v_add_f64_e32 v[32:33], v[32:33], v[48:49]
	v_add_f64_e32 v[34:35], v[34:35], v[36:37]
	;; [unrolled: 1-line block ×3, first 2 shown]
	v_fma_f64 v[36:37], v[46:47], s[2:3], v[42:43]
	v_fma_f64 v[42:43], v[38:39], s[2:3], v[52:53]
	s_wait_alu 0xfffe
	v_fma_f64 v[0:1], v[38:39], s[6:7], v[0:1]
	v_fma_f64 v[30:31], v[46:47], s[6:7], v[30:31]
	s_mov_b32 s2, 0x372fe950
	s_mov_b32 s3, 0x3fd3c6ef
	v_add_f64_e32 v[34:35], v[34:35], v[40:41]
	s_wait_alu 0xfffe
	v_fma_f64 v[36:37], v[32:33], s[2:3], v[36:37]
	v_fma_f64 v[38:39], v[44:45], s[2:3], v[42:43]
	;; [unrolled: 1-line block ×4, first 2 shown]
	v_mad_u32_u24 v32, 0x550, v70, 0
	s_delay_alu instid0(VALU_DEP_1)
	v_add3_u32 v32, v32, v71, v93
	ds_store_2addr_b64 v32, v[34:35], v[36:37] offset1:34
	ds_store_2addr_b64 v32, v[38:39], v[0:1] offset0:68 offset1:102
	ds_store_b64 v32, v[30:31] offset:1088
.LBB0_22:
	s_wait_alu 0xfffe
	s_or_b32 exec_lo, exec_lo, s1
	global_wb scope:SCOPE_SE
	s_wait_dscnt 0x0
	s_barrier_signal -1
	s_barrier_wait -1
	global_inv scope:SCOPE_SE
	s_and_saveexec_b32 s0, vcc_lo
	s_cbranch_execz .LBB0_24
; %bb.23:
	v_mul_u32_u24_e32 v0, 6, v106
	v_mul_u32_u24_e32 v1, 6, v92
	v_add_nc_u32_e32 v90, 0x1800, v129
	v_add_nc_u32_e32 v91, 0x800, v129
	;; [unrolled: 1-line block ×3, first 2 shown]
	v_lshlrev_b32_e32 v0, 4, v0
	v_lshlrev_b32_e32 v1, 4, v1
	s_mov_b32 s0, 0xe976ee23
	s_mov_b32 s6, 0x37e14327
	;; [unrolled: 1-line block ×3, first 2 shown]
	s_clause 0xb
	global_load_b128 v[30:33], v0, s[4:5] offset:2464
	global_load_b128 v[34:37], v0, s[4:5] offset:2512
	;; [unrolled: 1-line block ×12, first 2 shown]
	v_add_nc_u32_e32 v0, 0x400, v129
	v_add_nc_u32_e32 v1, 0x1400, v129
	s_mov_b32 s4, 0x36b3c0b5
	s_mov_b32 s1, 0xbfe11646
	ds_load_2addr_b64 v[78:81], v0 offset0:127 offset1:212
	ds_load_2addr_b64 v[82:85], v1 offset0:125 offset1:210
	;; [unrolled: 1-line block ×5, first 2 shown]
	ds_load_b64 v[90:91], v129 offset:8840
	ds_load_b64 v[123:124], v128
	ds_load_2addr_b64 v[107:110], v93 offset0:83 offset1:168
	s_mov_b32 s5, 0x3fac98ee
	s_mov_b32 s7, 0x3fe948f6
	;; [unrolled: 1-line block ×8, first 2 shown]
	s_wait_alu 0xfffe
	s_mov_b32 s14, s12
	v_mov_b32_e32 v93, 0
	s_wait_loadcnt 0xb
	v_mul_f64_e32 v[0:1], v[6:7], v[32:33]
	s_wait_loadcnt 0xa
	v_mul_f64_e32 v[104:105], v[22:23], v[36:37]
	;; [unrolled: 2-line block ×8, first 2 shown]
	s_wait_dscnt 0x7
	v_mul_f64_e32 v[48:49], v[80:81], v[48:49]
	s_wait_dscnt 0x6
	v_mul_f64_e32 v[52:53], v[84:85], v[52:53]
	;; [unrolled: 2-line block ×5, first 2 shown]
	v_mul_f64_e32 v[36:37], v[96:97], v[36:37]
	v_mul_f64_e32 v[40:41], v[78:79], v[40:41]
	s_wait_dscnt 0x2
	v_mul_f64_e32 v[44:45], v[90:91], v[44:45]
	s_wait_loadcnt 0x3
	v_mul_f64_e32 v[125:126], v[82:83], v[64:65]
	s_wait_loadcnt_dscnt 0x200
	v_mul_f64_e32 v[127:128], v[107:108], v[68:69]
	v_mul_f64_e32 v[68:69], v[10:11], v[68:69]
	;; [unrolled: 1-line block ×3, first 2 shown]
	s_wait_loadcnt 0x1
	v_mul_f64_e32 v[129:130], v[109:110], v[72:73]
	s_wait_loadcnt 0x0
	v_mul_f64_e32 v[131:132], v[102:103], v[76:77]
	v_mul_f64_e32 v[76:77], v[8:9], v[76:77]
	v_mul_f64_e32 v[72:73], v[12:13], v[72:73]
	v_fma_f64 v[0:1], v[30:31], v[100:101], v[0:1]
	v_fma_f64 v[96:97], v[34:35], v[96:97], v[104:105]
	;; [unrolled: 1-line block ×8, first 2 shown]
	v_fma_f64 v[16:17], v[16:17], v[46:47], -v[48:49]
	v_fma_f64 v[20:21], v[20:21], v[50:51], -v[52:53]
	;; [unrolled: 1-line block ×10, first 2 shown]
	v_fma_f64 v[30:31], v[66:67], v[107:108], v[68:69]
	v_fma_f64 v[32:33], v[62:63], v[82:83], v[64:65]
	v_fma_f64 v[12:13], v[12:13], v[70:71], -v[129:130]
	v_fma_f64 v[8:9], v[8:9], v[74:75], -v[131:132]
	v_fma_f64 v[34:35], v[74:75], v[102:103], v[76:77]
	v_fma_f64 v[40:41], v[70:71], v[109:110], v[72:73]
	v_add_f64_e32 v[36:37], v[0:1], v[96:97]
	v_add_f64_e64 v[0:1], v[0:1], -v[96:97]
	v_add_f64_e32 v[38:39], v[78:79], v[90:91]
	v_add_f64_e32 v[42:43], v[80:81], v[84:85]
	;; [unrolled: 1-line block ×4, first 2 shown]
	v_add_f64_e64 v[16:17], v[16:17], -v[20:21]
	v_add_f64_e32 v[48:49], v[4:5], v[24:25]
	v_add_f64_e32 v[50:51], v[6:7], v[22:23]
	v_add_f64_e64 v[6:7], v[6:7], -v[22:23]
	v_add_f64_e32 v[52:53], v[14:15], v[28:29]
	v_add_f64_e64 v[14:15], v[14:15], -v[28:29]
	v_add_f64_e64 v[54:55], v[18:19], -v[10:11]
	v_add_f64_e32 v[10:11], v[18:19], v[10:11]
	v_add_f64_e32 v[22:23], v[32:33], v[30:31]
	v_add_f64_e64 v[30:31], v[32:33], -v[30:31]
	v_add_f64_e64 v[28:29], v[12:13], -v[8:9]
	v_add_f64_e32 v[8:9], v[12:13], v[8:9]
	v_add_f64_e32 v[56:57], v[40:41], v[34:35]
	v_add_f64_e64 v[12:13], v[4:5], -v[24:25]
	v_add_f64_e64 v[18:19], v[40:41], -v[34:35]
	;; [unrolled: 1-line block ×5, first 2 shown]
	v_add_f64_e32 v[20:21], v[36:37], v[38:39]
	v_add_f64_e32 v[4:5], v[42:43], v[44:45]
	;; [unrolled: 1-line block ×4, first 2 shown]
	v_add_f64_e64 v[64:65], v[6:7], -v[14:15]
	v_add_f64_e64 v[60:61], v[54:55], -v[6:7]
	v_add_f64_e64 v[80:81], v[52:53], -v[10:11]
	v_add_f64_e64 v[62:63], v[38:39], -v[22:23]
	v_add_f64_e64 v[66:67], v[22:23], -v[36:37]
	v_add_f64_e64 v[68:69], v[28:29], -v[16:17]
	v_add_f64_e64 v[70:71], v[48:49], -v[8:9]
	v_add_f64_e64 v[84:85], v[8:9], -v[46:47]
	v_add_f64_e64 v[72:73], v[16:17], -v[12:13]
	v_add_f64_e64 v[82:83], v[30:31], -v[0:1]
	v_add_f64_e64 v[76:77], v[18:19], -v[24:25]
	v_add_f64_e64 v[78:79], v[24:25], -v[34:35]
	v_add_f64_e64 v[88:89], v[0:1], -v[40:41]
	v_add_f64_e32 v[90:91], v[54:55], v[6:7]
	v_add_f64_e64 v[54:55], v[14:15], -v[54:55]
	v_add_f64_e32 v[0:1], v[30:31], v[0:1]
	v_add_f64_e32 v[16:17], v[28:29], v[16:17]
	;; [unrolled: 1-line block ×3, first 2 shown]
	v_add_f64_e64 v[36:37], v[36:37], -v[38:39]
	v_add_f64_e64 v[28:29], v[12:13], -v[28:29]
	;; [unrolled: 1-line block ×5, first 2 shown]
	v_add_f64_e32 v[20:21], v[22:23], v[20:21]
	v_add_f64_e64 v[22:23], v[44:45], -v[56:57]
	v_add_f64_e32 v[74:75], v[56:57], v[4:5]
	v_add_f64_e64 v[56:57], v[56:57], -v[42:43]
	v_add_f64_e64 v[42:43], v[42:43], -v[44:45]
	v_add_f64_e32 v[32:33], v[8:9], v[32:33]
	v_add_f64_e32 v[58:59], v[10:11], v[58:59]
	v_add_f64_e64 v[10:11], v[10:11], -v[50:51]
	v_mul_f64_e32 v[60:61], s[0:1], v[60:61]
	v_mul_f64_e32 v[96:97], s[10:11], v[64:65]
	v_mul_f64_e32 v[62:63], s[6:7], v[62:63]
	v_mul_f64_e32 v[38:39], s[4:5], v[66:67]
	v_mul_f64_e32 v[68:69], s[0:1], v[68:69]
	v_mul_f64_e32 v[70:71], s[6:7], v[70:71]
	v_mul_f64_e32 v[48:49], s[4:5], v[84:85]
	v_add_f64_e64 v[50:51], v[50:51], -v[52:53]
	v_mul_f64_e32 v[76:77], s[0:1], v[76:77]
	v_mul_f64_e32 v[98:99], s[10:11], v[78:79]
	v_add_f64_e32 v[14:15], v[90:91], v[14:15]
	v_add_f64_e32 v[0:1], v[0:1], v[40:41]
	;; [unrolled: 1-line block ×5, first 2 shown]
	v_mul_f64_e32 v[22:23], s[6:7], v[22:23]
	v_mul_f64_e32 v[86:87], s[10:11], v[72:73]
	v_add_f64_e32 v[8:9], v[123:124], v[74:75]
	v_mul_f64_e32 v[44:45], s[4:5], v[56:57]
	v_add_f64_e32 v[6:7], v[26:27], v[32:33]
	v_mul_f64_e32 v[26:27], s[6:7], v[80:81]
	v_mul_f64_e32 v[80:81], s[0:1], v[82:83]
	;; [unrolled: 1-line block ×3, first 2 shown]
	v_add_f64_e32 v[2:3], v[2:3], v[58:59]
	v_mul_f64_e32 v[52:53], s[4:5], v[10:11]
	s_mov_b32 s0, 0xaaaaaaaa
	s_mov_b32 s1, 0xbff2aaaa
	;; [unrolled: 1-line block ×4, first 2 shown]
	v_fma_f64 v[24:25], v[54:55], s[2:3], v[60:61]
	v_fma_f64 v[34:35], v[66:67], s[4:5], v[62:63]
	s_wait_alu 0xfffe
	v_fma_f64 v[40:41], v[54:55], s[6:7], -v[96:97]
	v_fma_f64 v[54:55], v[36:37], s[12:13], -v[62:63]
	v_fma_f64 v[36:37], v[36:37], s[14:15], -v[38:39]
	v_fma_f64 v[38:39], v[64:65], s[10:11], -v[60:61]
	v_fma_f64 v[60:61], v[28:29], s[2:3], v[68:69]
	v_fma_f64 v[62:63], v[84:85], s[4:5], v[70:71]
	v_fma_f64 v[64:65], v[72:73], s[10:11], -v[68:69]
	v_fma_f64 v[68:69], v[78:79], s[10:11], -v[76:77]
	;; [unrolled: 1-line block ×4, first 2 shown]
	v_fma_f64 v[20:21], v[20:21], s[0:1], v[4:5]
	v_fma_f64 v[56:57], v[56:57], s[4:5], v[22:23]
	v_fma_f64 v[28:29], v[28:29], s[6:7], -v[86:87]
	v_fma_f64 v[22:23], v[42:43], s[12:13], -v[22:23]
	v_fma_f64 v[66:67], v[74:75], s[0:1], v[8:9]
	v_fma_f64 v[42:43], v[42:43], s[14:15], -v[44:45]
	v_fma_f64 v[44:45], v[18:19], s[2:3], v[76:77]
	;; [unrolled: 2-line block ×3, first 2 shown]
	v_fma_f64 v[10:11], v[10:11], s[4:5], v[26:27]
	v_fma_f64 v[48:49], v[30:31], s[2:3], v[80:81]
	v_fma_f64 v[30:31], v[30:31], s[6:7], -v[82:83]
	v_fma_f64 v[58:59], v[58:59], s[0:1], v[2:3]
	v_fma_f64 v[72:73], v[88:89], s[10:11], -v[80:81]
	v_fma_f64 v[26:27], v[50:51], s[12:13], -v[26:27]
	;; [unrolled: 1-line block ×3, first 2 shown]
	s_mov_b32 s0, 0x37c3f68c
	s_mov_b32 s1, 0x3fdc38aa
	v_mul_hi_u32 v80, 0xc0c0c0c1, v106
	s_wait_alu 0xfffe
	v_fma_f64 v[74:75], v[14:15], s[0:1], v[24:25]
	v_fma_f64 v[40:41], v[14:15], s[0:1], v[40:41]
	;; [unrolled: 1-line block ×4, first 2 shown]
	v_add_f64_e32 v[60:61], v[34:35], v[20:21]
	v_add_f64_e32 v[34:35], v[54:55], v[20:21]
	v_fma_f64 v[52:53], v[12:13], s[0:1], v[28:29]
	v_fma_f64 v[54:55], v[12:13], s[0:1], v[64:65]
	v_add_f64_e32 v[56:57], v[56:57], v[66:67]
	v_add_f64_e32 v[22:23], v[22:23], v[66:67]
	v_fma_f64 v[64:65], v[16:17], s[0:1], v[44:45]
	v_add_f64_e32 v[42:43], v[42:43], v[66:67]
	v_add_f64_e32 v[62:63], v[62:63], v[32:33]
	v_fma_f64 v[18:19], v[16:17], s[0:1], v[18:19]
	v_fma_f64 v[66:67], v[16:17], s[0:1], v[68:69]
	v_add_f64_e32 v[68:69], v[70:71], v[32:33]
	v_add_f64_e32 v[70:71], v[46:47], v[32:33]
	v_fma_f64 v[76:77], v[0:1], s[0:1], v[48:49]
	v_add_f64_e32 v[10:11], v[10:11], v[58:59]
	v_fma_f64 v[78:79], v[0:1], s[0:1], v[30:31]
	v_fma_f64 v[0:1], v[0:1], s[0:1], v[72:73]
	v_add_f64_e32 v[72:73], v[26:27], v[58:59]
	v_add_f64_e32 v[24:25], v[36:37], v[20:21]
	;; [unrolled: 1-line block ×5, first 2 shown]
	v_add_f64_e64 v[28:29], v[34:35], -v[40:41]
	v_add_f64_e32 v[32:33], v[38:39], v[56:57]
	v_add_f64_e32 v[36:37], v[52:53], v[22:23]
	v_add_f64_e64 v[48:49], v[22:23], -v[52:53]
	v_add_f64_e64 v[52:53], v[56:57], -v[38:39]
	v_add_f64_e32 v[50:51], v[64:65], v[62:63]
	v_add_f64_e64 v[40:41], v[42:43], -v[54:55]
	v_add_f64_e32 v[44:45], v[54:55], v[42:43]
	v_add_f64_e32 v[46:47], v[18:19], v[68:69]
	v_add_f64_e64 v[42:43], v[70:71], -v[66:67]
	v_add_f64_e32 v[38:39], v[66:67], v[70:71]
	v_add_f64_e64 v[34:35], v[68:69], -v[18:19]
	v_add_f64_e64 v[30:31], v[62:63], -v[64:65]
	;; [unrolled: 1-line block ×3, first 2 shown]
	v_add_f64_e32 v[54:55], v[76:77], v[10:11]
	v_add_f64_e32 v[26:27], v[78:79], v[72:73]
	v_add_f64_e64 v[20:21], v[24:25], -v[14:15]
	v_add_f64_e32 v[24:25], v[14:15], v[24:25]
	v_add_f64_e64 v[22:23], v[58:59], -v[0:1]
	;; [unrolled: 2-line block ×3, first 2 shown]
	v_add_f64_e64 v[10:11], v[10:11], -v[76:77]
	v_lshrrev_b32_e32 v58, 7, v80
	v_lshlrev_b64_e32 v[0:1], 4, v[92:93]
	v_add_co_u32 v60, vcc_lo, s8, v94
	s_wait_alu 0xfffd
	v_add_co_ci_u32_e32 v61, vcc_lo, s9, v95, vcc_lo
	v_mul_u32_u24_e32 v92, 0x3fc, v58
	s_delay_alu instid0(VALU_DEP_3) | instskip(SKIP_1) | instid1(VALU_DEP_3)
	v_add_co_u32 v0, vcc_lo, v60, v0
	s_wait_alu 0xfffd
	v_add_co_ci_u32_e32 v1, vcc_lo, v61, v1, vcc_lo
	s_delay_alu instid0(VALU_DEP_3) | instskip(NEXT) | instid1(VALU_DEP_1)
	v_lshlrev_b64_e32 v[58:59], 4, v[92:93]
	v_add_co_u32 v58, vcc_lo, v0, v58
	s_wait_alu 0xfffd
	s_delay_alu instid0(VALU_DEP_2)
	v_add_co_ci_u32_e32 v59, vcc_lo, v1, v59, vcc_lo
	s_clause 0xd
	global_store_b128 v[0:1], v[6:9], off
	global_store_b128 v[0:1], v[50:53], off offset:2720
	global_store_b128 v[0:1], v[46:49], off offset:5440
	;; [unrolled: 1-line block ×13, first 2 shown]
.LBB0_24:
	s_nop 0
	s_sendmsg sendmsg(MSG_DEALLOC_VGPRS)
	s_endpgm
	.section	.rodata,"a",@progbits
	.p2align	6, 0x0
	.amdhsa_kernel fft_rtc_fwd_len1190_factors_17_2_5_7_wgs_255_tpt_85_halfLds_dp_ip_CI_unitstride_sbrr_dirReg
		.amdhsa_group_segment_fixed_size 0
		.amdhsa_private_segment_fixed_size 0
		.amdhsa_kernarg_size 88
		.amdhsa_user_sgpr_count 2
		.amdhsa_user_sgpr_dispatch_ptr 0
		.amdhsa_user_sgpr_queue_ptr 0
		.amdhsa_user_sgpr_kernarg_segment_ptr 1
		.amdhsa_user_sgpr_dispatch_id 0
		.amdhsa_user_sgpr_private_segment_size 0
		.amdhsa_wavefront_size32 1
		.amdhsa_uses_dynamic_stack 0
		.amdhsa_enable_private_segment 0
		.amdhsa_system_sgpr_workgroup_id_x 1
		.amdhsa_system_sgpr_workgroup_id_y 0
		.amdhsa_system_sgpr_workgroup_id_z 0
		.amdhsa_system_sgpr_workgroup_info 0
		.amdhsa_system_vgpr_workitem_id 0
		.amdhsa_next_free_vgpr 210
		.amdhsa_next_free_sgpr 56
		.amdhsa_reserve_vcc 1
		.amdhsa_float_round_mode_32 0
		.amdhsa_float_round_mode_16_64 0
		.amdhsa_float_denorm_mode_32 3
		.amdhsa_float_denorm_mode_16_64 3
		.amdhsa_fp16_overflow 0
		.amdhsa_workgroup_processor_mode 1
		.amdhsa_memory_ordered 1
		.amdhsa_forward_progress 0
		.amdhsa_round_robin_scheduling 0
		.amdhsa_exception_fp_ieee_invalid_op 0
		.amdhsa_exception_fp_denorm_src 0
		.amdhsa_exception_fp_ieee_div_zero 0
		.amdhsa_exception_fp_ieee_overflow 0
		.amdhsa_exception_fp_ieee_underflow 0
		.amdhsa_exception_fp_ieee_inexact 0
		.amdhsa_exception_int_div_zero 0
	.end_amdhsa_kernel
	.text
.Lfunc_end0:
	.size	fft_rtc_fwd_len1190_factors_17_2_5_7_wgs_255_tpt_85_halfLds_dp_ip_CI_unitstride_sbrr_dirReg, .Lfunc_end0-fft_rtc_fwd_len1190_factors_17_2_5_7_wgs_255_tpt_85_halfLds_dp_ip_CI_unitstride_sbrr_dirReg
                                        ; -- End function
	.section	.AMDGPU.csdata,"",@progbits
; Kernel info:
; codeLenInByte = 13008
; NumSgprs: 58
; NumVgprs: 210
; ScratchSize: 0
; MemoryBound: 1
; FloatMode: 240
; IeeeMode: 1
; LDSByteSize: 0 bytes/workgroup (compile time only)
; SGPRBlocks: 7
; VGPRBlocks: 26
; NumSGPRsForWavesPerEU: 58
; NumVGPRsForWavesPerEU: 210
; Occupancy: 7
; WaveLimiterHint : 1
; COMPUTE_PGM_RSRC2:SCRATCH_EN: 0
; COMPUTE_PGM_RSRC2:USER_SGPR: 2
; COMPUTE_PGM_RSRC2:TRAP_HANDLER: 0
; COMPUTE_PGM_RSRC2:TGID_X_EN: 1
; COMPUTE_PGM_RSRC2:TGID_Y_EN: 0
; COMPUTE_PGM_RSRC2:TGID_Z_EN: 0
; COMPUTE_PGM_RSRC2:TIDIG_COMP_CNT: 0
	.text
	.p2alignl 7, 3214868480
	.fill 96, 4, 3214868480
	.type	__hip_cuid_b3e566b6df127236,@object ; @__hip_cuid_b3e566b6df127236
	.section	.bss,"aw",@nobits
	.globl	__hip_cuid_b3e566b6df127236
__hip_cuid_b3e566b6df127236:
	.byte	0                               ; 0x0
	.size	__hip_cuid_b3e566b6df127236, 1

	.ident	"AMD clang version 19.0.0git (https://github.com/RadeonOpenCompute/llvm-project roc-6.4.0 25133 c7fe45cf4b819c5991fe208aaa96edf142730f1d)"
	.section	".note.GNU-stack","",@progbits
	.addrsig
	.addrsig_sym __hip_cuid_b3e566b6df127236
	.amdgpu_metadata
---
amdhsa.kernels:
  - .args:
      - .actual_access:  read_only
        .address_space:  global
        .offset:         0
        .size:           8
        .value_kind:     global_buffer
      - .offset:         8
        .size:           8
        .value_kind:     by_value
      - .actual_access:  read_only
        .address_space:  global
        .offset:         16
        .size:           8
        .value_kind:     global_buffer
      - .actual_access:  read_only
        .address_space:  global
        .offset:         24
        .size:           8
        .value_kind:     global_buffer
      - .offset:         32
        .size:           8
        .value_kind:     by_value
      - .actual_access:  read_only
        .address_space:  global
        .offset:         40
        .size:           8
        .value_kind:     global_buffer
      - .actual_access:  read_only
        .address_space:  global
        .offset:         48
        .size:           8
        .value_kind:     global_buffer
      - .offset:         56
        .size:           4
        .value_kind:     by_value
      - .actual_access:  read_only
        .address_space:  global
        .offset:         64
        .size:           8
        .value_kind:     global_buffer
      - .actual_access:  read_only
        .address_space:  global
        .offset:         72
        .size:           8
        .value_kind:     global_buffer
      - .address_space:  global
        .offset:         80
        .size:           8
        .value_kind:     global_buffer
    .group_segment_fixed_size: 0
    .kernarg_segment_align: 8
    .kernarg_segment_size: 88
    .language:       OpenCL C
    .language_version:
      - 2
      - 0
    .max_flat_workgroup_size: 255
    .name:           fft_rtc_fwd_len1190_factors_17_2_5_7_wgs_255_tpt_85_halfLds_dp_ip_CI_unitstride_sbrr_dirReg
    .private_segment_fixed_size: 0
    .sgpr_count:     58
    .sgpr_spill_count: 0
    .symbol:         fft_rtc_fwd_len1190_factors_17_2_5_7_wgs_255_tpt_85_halfLds_dp_ip_CI_unitstride_sbrr_dirReg.kd
    .uniform_work_group_size: 1
    .uses_dynamic_stack: false
    .vgpr_count:     210
    .vgpr_spill_count: 0
    .wavefront_size: 32
    .workgroup_processor_mode: 1
amdhsa.target:   amdgcn-amd-amdhsa--gfx1201
amdhsa.version:
  - 1
  - 2
...

	.end_amdgpu_metadata
